;; amdgpu-corpus repo=ROCm/rocFFT kind=compiled arch=gfx1100 opt=O3
	.text
	.amdgcn_target "amdgcn-amd-amdhsa--gfx1100"
	.amdhsa_code_object_version 6
	.protected	fft_rtc_back_len1352_factors_2_13_13_4_wgs_52_tpt_52_halfLds_half_ip_CI_unitstride_sbrr_dirReg ; -- Begin function fft_rtc_back_len1352_factors_2_13_13_4_wgs_52_tpt_52_halfLds_half_ip_CI_unitstride_sbrr_dirReg
	.globl	fft_rtc_back_len1352_factors_2_13_13_4_wgs_52_tpt_52_halfLds_half_ip_CI_unitstride_sbrr_dirReg
	.p2align	8
	.type	fft_rtc_back_len1352_factors_2_13_13_4_wgs_52_tpt_52_halfLds_half_ip_CI_unitstride_sbrr_dirReg,@function
fft_rtc_back_len1352_factors_2_13_13_4_wgs_52_tpt_52_halfLds_half_ip_CI_unitstride_sbrr_dirReg: ; @fft_rtc_back_len1352_factors_2_13_13_4_wgs_52_tpt_52_halfLds_half_ip_CI_unitstride_sbrr_dirReg
; %bb.0:
	s_clause 0x2
	s_load_b128 s[4:7], s[0:1], 0x0
	s_load_b64 s[8:9], s[0:1], 0x50
	s_load_b64 s[10:11], s[0:1], 0x18
	v_mul_u32_u24_e32 v1, 0x4ed, v0
	v_mov_b32_e32 v3, 0
	s_delay_alu instid0(VALU_DEP_2) | instskip(NEXT) | instid1(VALU_DEP_1)
	v_lshrrev_b32_e32 v1, 16, v1
	v_add_nc_u32_e32 v5, s15, v1
	v_mov_b32_e32 v1, 0
	v_mov_b32_e32 v2, 0
	;; [unrolled: 1-line block ×3, first 2 shown]
	s_waitcnt lgkmcnt(0)
	v_cmp_lt_u64_e64 s2, s[6:7], 2
	s_delay_alu instid0(VALU_DEP_1)
	s_and_b32 vcc_lo, exec_lo, s2
	s_cbranch_vccnz .LBB0_8
; %bb.1:
	s_load_b64 s[2:3], s[0:1], 0x10
	v_mov_b32_e32 v1, 0
	s_add_u32 s12, s10, 8
	v_mov_b32_e32 v2, 0
	s_addc_u32 s13, s11, 0
	s_mov_b64 s[16:17], 1
	s_waitcnt lgkmcnt(0)
	s_add_u32 s14, s2, 8
	s_addc_u32 s15, s3, 0
.LBB0_2:                                ; =>This Inner Loop Header: Depth=1
	s_load_b64 s[18:19], s[14:15], 0x0
                                        ; implicit-def: $vgpr7_vgpr8
	s_mov_b32 s2, exec_lo
	s_waitcnt lgkmcnt(0)
	v_or_b32_e32 v4, s19, v6
	s_delay_alu instid0(VALU_DEP_1)
	v_cmpx_ne_u64_e32 0, v[3:4]
	s_xor_b32 s3, exec_lo, s2
	s_cbranch_execz .LBB0_4
; %bb.3:                                ;   in Loop: Header=BB0_2 Depth=1
	v_cvt_f32_u32_e32 v4, s18
	v_cvt_f32_u32_e32 v7, s19
	s_sub_u32 s2, 0, s18
	s_subb_u32 s20, 0, s19
	s_delay_alu instid0(VALU_DEP_1) | instskip(NEXT) | instid1(VALU_DEP_1)
	v_fmac_f32_e32 v4, 0x4f800000, v7
	v_rcp_f32_e32 v4, v4
	s_waitcnt_depctr 0xfff
	v_mul_f32_e32 v4, 0x5f7ffffc, v4
	s_delay_alu instid0(VALU_DEP_1) | instskip(NEXT) | instid1(VALU_DEP_1)
	v_mul_f32_e32 v7, 0x2f800000, v4
	v_trunc_f32_e32 v7, v7
	s_delay_alu instid0(VALU_DEP_1) | instskip(SKIP_1) | instid1(VALU_DEP_2)
	v_fmac_f32_e32 v4, 0xcf800000, v7
	v_cvt_u32_f32_e32 v7, v7
	v_cvt_u32_f32_e32 v4, v4
	s_delay_alu instid0(VALU_DEP_2) | instskip(NEXT) | instid1(VALU_DEP_2)
	v_mul_lo_u32 v8, s2, v7
	v_mul_hi_u32 v9, s2, v4
	v_mul_lo_u32 v10, s20, v4
	s_delay_alu instid0(VALU_DEP_2) | instskip(SKIP_1) | instid1(VALU_DEP_2)
	v_add_nc_u32_e32 v8, v9, v8
	v_mul_lo_u32 v9, s2, v4
	v_add_nc_u32_e32 v8, v8, v10
	s_delay_alu instid0(VALU_DEP_2) | instskip(NEXT) | instid1(VALU_DEP_2)
	v_mul_hi_u32 v10, v4, v9
	v_mul_lo_u32 v11, v4, v8
	v_mul_hi_u32 v12, v4, v8
	v_mul_hi_u32 v13, v7, v9
	v_mul_lo_u32 v9, v7, v9
	v_mul_hi_u32 v14, v7, v8
	v_mul_lo_u32 v8, v7, v8
	v_add_co_u32 v10, vcc_lo, v10, v11
	v_add_co_ci_u32_e32 v11, vcc_lo, 0, v12, vcc_lo
	s_delay_alu instid0(VALU_DEP_2) | instskip(NEXT) | instid1(VALU_DEP_2)
	v_add_co_u32 v9, vcc_lo, v10, v9
	v_add_co_ci_u32_e32 v9, vcc_lo, v11, v13, vcc_lo
	v_add_co_ci_u32_e32 v10, vcc_lo, 0, v14, vcc_lo
	s_delay_alu instid0(VALU_DEP_2) | instskip(NEXT) | instid1(VALU_DEP_2)
	v_add_co_u32 v8, vcc_lo, v9, v8
	v_add_co_ci_u32_e32 v9, vcc_lo, 0, v10, vcc_lo
	s_delay_alu instid0(VALU_DEP_2) | instskip(NEXT) | instid1(VALU_DEP_2)
	v_add_co_u32 v4, vcc_lo, v4, v8
	v_add_co_ci_u32_e32 v7, vcc_lo, v7, v9, vcc_lo
	s_delay_alu instid0(VALU_DEP_2) | instskip(SKIP_1) | instid1(VALU_DEP_3)
	v_mul_hi_u32 v8, s2, v4
	v_mul_lo_u32 v10, s20, v4
	v_mul_lo_u32 v9, s2, v7
	s_delay_alu instid0(VALU_DEP_1) | instskip(SKIP_1) | instid1(VALU_DEP_2)
	v_add_nc_u32_e32 v8, v8, v9
	v_mul_lo_u32 v9, s2, v4
	v_add_nc_u32_e32 v8, v8, v10
	s_delay_alu instid0(VALU_DEP_2) | instskip(NEXT) | instid1(VALU_DEP_2)
	v_mul_hi_u32 v10, v4, v9
	v_mul_lo_u32 v11, v4, v8
	v_mul_hi_u32 v12, v4, v8
	v_mul_hi_u32 v13, v7, v9
	v_mul_lo_u32 v9, v7, v9
	v_mul_hi_u32 v14, v7, v8
	v_mul_lo_u32 v8, v7, v8
	v_add_co_u32 v10, vcc_lo, v10, v11
	v_add_co_ci_u32_e32 v11, vcc_lo, 0, v12, vcc_lo
	s_delay_alu instid0(VALU_DEP_2) | instskip(NEXT) | instid1(VALU_DEP_2)
	v_add_co_u32 v9, vcc_lo, v10, v9
	v_add_co_ci_u32_e32 v9, vcc_lo, v11, v13, vcc_lo
	v_add_co_ci_u32_e32 v10, vcc_lo, 0, v14, vcc_lo
	s_delay_alu instid0(VALU_DEP_2) | instskip(NEXT) | instid1(VALU_DEP_2)
	v_add_co_u32 v8, vcc_lo, v9, v8
	v_add_co_ci_u32_e32 v9, vcc_lo, 0, v10, vcc_lo
	s_delay_alu instid0(VALU_DEP_2) | instskip(NEXT) | instid1(VALU_DEP_2)
	v_add_co_u32 v4, vcc_lo, v4, v8
	v_add_co_ci_u32_e32 v13, vcc_lo, v7, v9, vcc_lo
	s_delay_alu instid0(VALU_DEP_2) | instskip(SKIP_1) | instid1(VALU_DEP_3)
	v_mul_hi_u32 v14, v5, v4
	v_mad_u64_u32 v[9:10], null, v6, v4, 0
	v_mad_u64_u32 v[7:8], null, v5, v13, 0
	;; [unrolled: 1-line block ×3, first 2 shown]
	s_delay_alu instid0(VALU_DEP_2) | instskip(NEXT) | instid1(VALU_DEP_3)
	v_add_co_u32 v4, vcc_lo, v14, v7
	v_add_co_ci_u32_e32 v7, vcc_lo, 0, v8, vcc_lo
	s_delay_alu instid0(VALU_DEP_2) | instskip(NEXT) | instid1(VALU_DEP_2)
	v_add_co_u32 v4, vcc_lo, v4, v9
	v_add_co_ci_u32_e32 v4, vcc_lo, v7, v10, vcc_lo
	v_add_co_ci_u32_e32 v7, vcc_lo, 0, v12, vcc_lo
	s_delay_alu instid0(VALU_DEP_2) | instskip(NEXT) | instid1(VALU_DEP_2)
	v_add_co_u32 v4, vcc_lo, v4, v11
	v_add_co_ci_u32_e32 v9, vcc_lo, 0, v7, vcc_lo
	s_delay_alu instid0(VALU_DEP_2) | instskip(SKIP_1) | instid1(VALU_DEP_3)
	v_mul_lo_u32 v10, s19, v4
	v_mad_u64_u32 v[7:8], null, s18, v4, 0
	v_mul_lo_u32 v11, s18, v9
	s_delay_alu instid0(VALU_DEP_2) | instskip(NEXT) | instid1(VALU_DEP_2)
	v_sub_co_u32 v7, vcc_lo, v5, v7
	v_add3_u32 v8, v8, v11, v10
	s_delay_alu instid0(VALU_DEP_1) | instskip(NEXT) | instid1(VALU_DEP_1)
	v_sub_nc_u32_e32 v10, v6, v8
	v_subrev_co_ci_u32_e64 v10, s2, s19, v10, vcc_lo
	v_add_co_u32 v11, s2, v4, 2
	s_delay_alu instid0(VALU_DEP_1) | instskip(SKIP_3) | instid1(VALU_DEP_3)
	v_add_co_ci_u32_e64 v12, s2, 0, v9, s2
	v_sub_co_u32 v13, s2, v7, s18
	v_sub_co_ci_u32_e32 v8, vcc_lo, v6, v8, vcc_lo
	v_subrev_co_ci_u32_e64 v10, s2, 0, v10, s2
	v_cmp_le_u32_e32 vcc_lo, s18, v13
	s_delay_alu instid0(VALU_DEP_3) | instskip(SKIP_1) | instid1(VALU_DEP_4)
	v_cmp_eq_u32_e64 s2, s19, v8
	v_cndmask_b32_e64 v13, 0, -1, vcc_lo
	v_cmp_le_u32_e32 vcc_lo, s19, v10
	v_cndmask_b32_e64 v14, 0, -1, vcc_lo
	v_cmp_le_u32_e32 vcc_lo, s18, v7
	;; [unrolled: 2-line block ×3, first 2 shown]
	v_cndmask_b32_e64 v15, 0, -1, vcc_lo
	v_cmp_eq_u32_e32 vcc_lo, s19, v10
	s_delay_alu instid0(VALU_DEP_2) | instskip(SKIP_3) | instid1(VALU_DEP_3)
	v_cndmask_b32_e64 v7, v15, v7, s2
	v_cndmask_b32_e32 v10, v14, v13, vcc_lo
	v_add_co_u32 v13, vcc_lo, v4, 1
	v_add_co_ci_u32_e32 v14, vcc_lo, 0, v9, vcc_lo
	v_cmp_ne_u32_e32 vcc_lo, 0, v10
	s_delay_alu instid0(VALU_DEP_2) | instskip(NEXT) | instid1(VALU_DEP_4)
	v_cndmask_b32_e32 v8, v14, v12, vcc_lo
	v_cndmask_b32_e32 v10, v13, v11, vcc_lo
	v_cmp_ne_u32_e32 vcc_lo, 0, v7
	s_delay_alu instid0(VALU_DEP_2)
	v_dual_cndmask_b32 v7, v4, v10 :: v_dual_cndmask_b32 v8, v9, v8
.LBB0_4:                                ;   in Loop: Header=BB0_2 Depth=1
	s_and_not1_saveexec_b32 s2, s3
	s_cbranch_execz .LBB0_6
; %bb.5:                                ;   in Loop: Header=BB0_2 Depth=1
	v_cvt_f32_u32_e32 v4, s18
	s_sub_i32 s3, 0, s18
	s_delay_alu instid0(VALU_DEP_1) | instskip(SKIP_2) | instid1(VALU_DEP_1)
	v_rcp_iflag_f32_e32 v4, v4
	s_waitcnt_depctr 0xfff
	v_mul_f32_e32 v4, 0x4f7ffffe, v4
	v_cvt_u32_f32_e32 v4, v4
	s_delay_alu instid0(VALU_DEP_1) | instskip(NEXT) | instid1(VALU_DEP_1)
	v_mul_lo_u32 v7, s3, v4
	v_mul_hi_u32 v7, v4, v7
	s_delay_alu instid0(VALU_DEP_1) | instskip(NEXT) | instid1(VALU_DEP_1)
	v_add_nc_u32_e32 v4, v4, v7
	v_mul_hi_u32 v4, v5, v4
	s_delay_alu instid0(VALU_DEP_1) | instskip(SKIP_1) | instid1(VALU_DEP_2)
	v_mul_lo_u32 v7, v4, s18
	v_add_nc_u32_e32 v8, 1, v4
	v_sub_nc_u32_e32 v7, v5, v7
	s_delay_alu instid0(VALU_DEP_1) | instskip(SKIP_1) | instid1(VALU_DEP_2)
	v_subrev_nc_u32_e32 v9, s18, v7
	v_cmp_le_u32_e32 vcc_lo, s18, v7
	v_dual_cndmask_b32 v7, v7, v9 :: v_dual_cndmask_b32 v4, v4, v8
	s_delay_alu instid0(VALU_DEP_1) | instskip(NEXT) | instid1(VALU_DEP_2)
	v_cmp_le_u32_e32 vcc_lo, s18, v7
	v_add_nc_u32_e32 v8, 1, v4
	s_delay_alu instid0(VALU_DEP_1)
	v_dual_cndmask_b32 v7, v4, v8 :: v_dual_mov_b32 v8, v3
.LBB0_6:                                ;   in Loop: Header=BB0_2 Depth=1
	s_or_b32 exec_lo, exec_lo, s2
	s_load_b64 s[2:3], s[12:13], 0x0
	s_delay_alu instid0(VALU_DEP_1) | instskip(NEXT) | instid1(VALU_DEP_2)
	v_mul_lo_u32 v4, v8, s18
	v_mul_lo_u32 v11, v7, s19
	v_mad_u64_u32 v[9:10], null, v7, s18, 0
	s_add_u32 s16, s16, 1
	s_addc_u32 s17, s17, 0
	s_add_u32 s12, s12, 8
	s_addc_u32 s13, s13, 0
	;; [unrolled: 2-line block ×3, first 2 shown]
	s_delay_alu instid0(VALU_DEP_1) | instskip(SKIP_1) | instid1(VALU_DEP_2)
	v_add3_u32 v4, v10, v11, v4
	v_sub_co_u32 v9, vcc_lo, v5, v9
	v_sub_co_ci_u32_e32 v4, vcc_lo, v6, v4, vcc_lo
	s_waitcnt lgkmcnt(0)
	s_delay_alu instid0(VALU_DEP_2) | instskip(NEXT) | instid1(VALU_DEP_2)
	v_mul_lo_u32 v10, s3, v9
	v_mul_lo_u32 v6, s2, v4
	v_mad_u64_u32 v[4:5], null, s2, v9, v[1:2]
	v_cmp_ge_u64_e64 s2, s[16:17], s[6:7]
	s_delay_alu instid0(VALU_DEP_1) | instskip(NEXT) | instid1(VALU_DEP_2)
	s_and_b32 vcc_lo, exec_lo, s2
	v_add3_u32 v2, v10, v5, v6
	s_delay_alu instid0(VALU_DEP_3)
	v_mov_b32_e32 v1, v4
	s_cbranch_vccnz .LBB0_9
; %bb.7:                                ;   in Loop: Header=BB0_2 Depth=1
	v_dual_mov_b32 v5, v7 :: v_dual_mov_b32 v6, v8
	s_branch .LBB0_2
.LBB0_8:
	v_dual_mov_b32 v8, v6 :: v_dual_mov_b32 v7, v5
.LBB0_9:
	s_lshl_b64 s[2:3], s[6:7], 3
	v_mul_hi_u32 v3, 0x4ec4ec5, v0
	s_add_u32 s2, s10, s2
	s_addc_u32 s3, s11, s3
	v_dual_mov_b32 v5, 0 :: v_dual_mov_b32 v12, 0
	s_load_b64 s[2:3], s[2:3], 0x0
	s_load_b64 s[0:1], s[0:1], 0x20
	v_dual_mov_b32 v13, 0 :: v_dual_mov_b32 v10, 0
	v_dual_mov_b32 v11, 0 :: v_dual_mov_b32 v4, 0
	;; [unrolled: 1-line block ×3, first 2 shown]
                                        ; implicit-def: $vgpr40
                                        ; implicit-def: $vgpr41
                                        ; implicit-def: $vgpr42
                                        ; implicit-def: $vgpr19
                                        ; implicit-def: $vgpr39
                                        ; implicit-def: $vgpr30
                                        ; implicit-def: $vgpr37
                                        ; implicit-def: $vgpr28
                                        ; implicit-def: $vgpr38
                                        ; implicit-def: $vgpr27
                                        ; implicit-def: $vgpr36
                                        ; implicit-def: $vgpr26
                                        ; implicit-def: $vgpr34
                                        ; implicit-def: $vgpr22
                                        ; implicit-def: $vgpr35
                                        ; implicit-def: $vgpr23
                                        ; implicit-def: $vgpr33
                                        ; implicit-def: $vgpr21
                                        ; implicit-def: $vgpr31
                                        ; implicit-def: $vgpr24
                                        ; implicit-def: $vgpr32
                                        ; implicit-def: $vgpr20
                                        ; implicit-def: $vgpr29
                                        ; implicit-def: $vgpr25
	v_mov_b32_e32 v16, 0
	s_waitcnt lgkmcnt(0)
	v_mul_lo_u32 v14, s2, v8
	v_mul_lo_u32 v15, s3, v7
	v_mad_u64_u32 v[17:18], null, s2, v7, v[1:2]
	v_mul_u32_u24_e32 v2, 52, v3
	v_cmp_gt_u64_e32 vcc_lo, s[0:1], v[7:8]
	v_dual_mov_b32 v1, 0 :: v_dual_mov_b32 v8, 0
	v_mov_b32_e32 v7, 0
	s_delay_alu instid0(VALU_DEP_4) | instskip(SKIP_2) | instid1(VALU_DEP_2)
	v_sub_nc_u32_e32 v0, v0, v2
	v_add3_u32 v18, v15, v18, v14
	v_dual_mov_b32 v15, 0 :: v_dual_mov_b32 v14, 0
	v_lshlrev_b64 v[2:3], 2, v[17:18]
                                        ; implicit-def: $vgpr17
                                        ; implicit-def: $vgpr18
	s_and_saveexec_b32 s1, vcc_lo
	s_cbranch_execz .LBB0_11
; %bb.10:
	v_mov_b32_e32 v1, 0
	s_delay_alu instid0(VALU_DEP_1) | instskip(NEXT) | instid1(VALU_DEP_3)
	v_lshlrev_b64 v[6:7], 2, v[0:1]
	v_add_co_u32 v1, s0, s8, v2
	s_delay_alu instid0(VALU_DEP_1) | instskip(NEXT) | instid1(VALU_DEP_2)
	v_add_co_ci_u32_e64 v4, s0, s9, v3, s0
	v_add_co_u32 v31, s0, v1, v6
	s_delay_alu instid0(VALU_DEP_1)
	v_add_co_ci_u32_e64 v32, s0, v4, v7, s0
	s_clause 0xa
	global_load_b32 v17, v[31:32], off offset:2704
	global_load_b32 v18, v[31:32], off offset:2912
	;; [unrolled: 1-line block ×3, first 2 shown]
	global_load_b32 v12, v[31:32], off
	global_load_b32 v13, v[31:32], off offset:208
	global_load_b32 v10, v[31:32], off offset:416
	;; [unrolled: 1-line block ×7, first 2 shown]
	v_add_co_u32 v7, s0, 0x1000, v31
	s_delay_alu instid0(VALU_DEP_1)
	v_add_co_ci_u32_e64 v8, s0, 0, v32, s0
	s_clause 0xe
	global_load_b32 v30, v[31:32], off offset:3328
	global_load_b32 v28, v[31:32], off offset:3536
	;; [unrolled: 1-line block ×15, first 2 shown]
	s_waitcnt vmcnt(25)
	v_lshrrev_b32_e32 v40, 16, v17
	s_waitcnt vmcnt(24)
	v_lshrrev_b32_e32 v41, 16, v18
	;; [unrolled: 2-line block ×13, first 2 shown]
.LBB0_11:
	s_or_b32 exec_lo, exec_lo, s1
	v_sub_f16_e32 v19, v10, v19
	v_sub_f16_e32 v26, v6, v26
	v_lshrrev_b32_e32 v45, 16, v10
	v_lshrrev_b32_e32 v49, 16, v6
	v_sub_f16_e32 v22, v1, v22
	v_fma_f16 v47, v10, 2.0, -v19
	v_lshrrev_b32_e32 v10, 16, v9
	v_fma_f16 v51, v6, 2.0, -v26
	s_waitcnt vmcnt(4)
	v_lshrrev_b32_e32 v6, 16, v16
	v_fma_f16 v52, v1, 2.0, -v22
	v_sub_f16_e32 v17, v12, v17
	v_sub_f16_e32 v37, v10, v37
	v_lshrrev_b32_e32 v43, 16, v12
	v_sub_f16_e32 v35, v6, v35
	s_waitcnt vmcnt(0)
	v_sub_f16_e32 v25, v7, v25
	v_fma_f16 v12, v12, 2.0, -v17
	v_fma_f16 v50, v10, 2.0, -v37
	v_lshrrev_b32_e32 v10, 16, v1
	v_lshrrev_b32_e32 v1, 16, v15
	v_fma_f16 v54, v6, 2.0, -v35
	v_lshrrev_b32_e32 v6, 16, v14
	v_sub_f16_e32 v28, v9, v28
	v_sub_f16_e32 v34, v10, v34
	;; [unrolled: 1-line block ×5, first 2 shown]
	v_fma_f16 v58, v7, 2.0, -v25
	v_fma_f16 v53, v10, 2.0, -v34
	;; [unrolled: 1-line block ×3, first 2 shown]
	v_lshrrev_b32_e32 v1, 16, v7
	v_lshrrev_b32_e32 v10, 16, v8
	v_fma_f16 v56, v6, 2.0, -v31
	v_lshl_add_u32 v59, v0, 2, 0
	v_pack_b32_f16 v6, v12, v17
	v_pack_b32_f16 v7, v47, v19
	v_sub_f16_e32 v30, v11, v30
	v_sub_f16_e32 v18, v13, v18
	;; [unrolled: 1-line block ×8, first 2 shown]
	v_lshrrev_b32_e32 v48, 16, v4
	v_fma_f16 v9, v9, 2.0, -v28
	v_fma_f16 v4, v4, 2.0, -v27
	ds_store_2addr_b32 v59, v6, v7 offset1:104
	v_add_nc_u32_e32 v6, 0x104, v0
	v_add_nc_u32_e32 v7, 0x138, v0
	v_lshrrev_b32_e32 v46, 16, v11
	v_fma_f16 v11, v11, 2.0, -v30
	v_lshrrev_b32_e32 v44, 16, v13
	v_sub_f16_e32 v40, v43, v40
	v_fma_f16 v13, v13, 2.0, -v18
	v_sub_f16_e32 v42, v45, v42
	v_fma_f16 v16, v16, 2.0, -v23
	v_fma_f16 v15, v15, 2.0, -v21
	;; [unrolled: 1-line block ×3, first 2 shown]
	v_add_nc_u32_e32 v1, 0xd0, v0
	v_fma_f16 v14, v14, 2.0, -v24
	v_fma_f16 v8, v8, 2.0, -v20
	;; [unrolled: 1-line block ×3, first 2 shown]
	v_add_nc_u32_e32 v10, 52, v0
	v_pack_b32_f16 v9, v9, v28
	v_lshl_add_u32 v28, v6, 2, 0
	v_pack_b32_f16 v4, v4, v27
	v_lshl_add_u32 v27, v7, 2, 0
	v_pack_b32_f16 v17, v51, v26
	v_pack_b32_f16 v11, v11, v30
	;; [unrolled: 1-line block ×3, first 2 shown]
	v_add_nc_u32_e32 v26, 0x200, v59
	v_fma_f16 v43, v43, 2.0, -v40
	v_fma_f16 v45, v45, 2.0, -v42
	v_sub_f16_e32 v38, v48, v38
	v_pack_b32_f16 v13, v13, v18
	v_lshl_add_u32 v18, v1, 2, 0
	v_pack_b32_f16 v16, v16, v23
	v_pack_b32_f16 v15, v15, v21
	v_add_nc_u32_e32 v21, 0x400, v59
	v_sub_f16_e32 v36, v49, v36
	v_lshl_add_u32 v19, v10, 2, 0
	v_pack_b32_f16 v14, v14, v24
	v_pack_b32_f16 v8, v8, v20
	v_add_nc_u32_e32 v20, 0x800, v59
	ds_store_b32 v28, v4
	ds_store_b32 v27, v17
	ds_store_2addr_b32 v26, v11, v22 offset0:28 offset1:236
	v_pack_b32_f16 v4, v58, v25
	v_sub_f16_e32 v39, v46, v39
	v_fma_f16 v48, v48, 2.0, -v38
	ds_store_2addr_b32 v21, v16, v15 offset0:160 offset1:212
	ds_store_2addr_b32 v20, v14, v8 offset0:8 offset1:60
	v_lshl_add_u32 v8, v0, 1, 0
	ds_store_b32 v18, v9
	ds_store_b32 v19, v13
	ds_store_b32 v59, v4 offset:2496
	v_pack_b32_f16 v4, v43, v40
	v_pack_b32_f16 v9, v45, v42
	v_fma_f16 v49, v49, 2.0, -v36
	v_fma_f16 v46, v46, 2.0, -v39
	s_waitcnt lgkmcnt(0)
	s_barrier
	buffer_gl0_inv
	ds_load_u16 v14, v8
	ds_load_u16 v13, v8 offset:832
	ds_load_u16 v23, v8 offset:1664
	;; [unrolled: 1-line block ×25, first 2 shown]
	s_waitcnt lgkmcnt(0)
	s_barrier
	buffer_gl0_inv
	v_pack_b32_f16 v16, v48, v38
	ds_store_2addr_b32 v59, v4, v9 offset1:104
	v_and_b32_e32 v4, 1, v0
	v_sub_f16_e32 v41, v44, v41
	v_pack_b32_f16 v25, v49, v36
	v_pack_b32_f16 v9, v46, v39
	ds_store_b32 v28, v16
	ds_store_b32 v27, v25
	v_pack_b32_f16 v16, v53, v34
	v_pack_b32_f16 v28, v56, v31
	;; [unrolled: 1-line block ×3, first 2 shown]
	v_mul_u32_u24_e32 v32, 12, v4
	v_fma_f16 v44, v44, 2.0, -v41
	v_pack_b32_f16 v30, v50, v37
	v_pack_b32_f16 v25, v54, v35
	;; [unrolled: 1-line block ×3, first 2 shown]
	ds_store_2addr_b32 v26, v9, v16 offset0:28 offset1:236
	v_pack_b32_f16 v9, v12, v29
	v_lshlrev_b32_e32 v12, 2, v32
	v_pack_b32_f16 v15, v44, v41
	ds_store_2addr_b32 v21, v25, v27 offset0:160 offset1:212
	ds_store_2addr_b32 v20, v28, v31 offset0:8 offset1:60
	ds_store_b32 v18, v30
	ds_store_b32 v19, v15
	ds_store_b32 v59, v9 offset:2496
	s_waitcnt lgkmcnt(0)
	s_barrier
	buffer_gl0_inv
	s_clause 0x2
	global_load_b128 v[51:54], v12, s[4:5]
	global_load_b128 v[55:58], v12, s[4:5] offset:16
	global_load_b128 v[59:62], v12, s[4:5] offset:32
	ds_load_u16 v21, v8
	ds_load_u16 v12, v8 offset:832
	ds_load_u16 v18, v8 offset:1664
	;; [unrolled: 1-line block ×25, first 2 shown]
	v_cmp_gt_u32_e64 s0, 26, v0
	s_waitcnt vmcnt(0) lgkmcnt(0)
	s_barrier
	buffer_gl0_inv
	v_lshrrev_b32_e32 v9, 16, v51
	v_lshrrev_b32_e32 v15, 16, v52
	;; [unrolled: 1-line block ×5, first 2 shown]
	v_mul_f16_e32 v96, v16, v9
	v_mul_f16_e32 v97, v11, v9
	v_mul_f16_e32 v98, v27, v15
	v_mul_f16_e32 v99, v22, v15
	v_mul_f16_e32 v35, v39, v45
	v_mul_f16_e32 v110, v73, v94
	v_mul_f16_e32 v33, v32, v9
	v_mul_f16_e32 v113, v64, v9
	v_mul_f16_e32 v30, v29, v15
	v_mul_f16_e32 v114, v63, v15
	v_fmac_f16_e32 v96, v11, v51
	v_fma_f16 v97, v16, v51, -v97
	v_lshrrev_b32_e32 v31, 16, v54
	v_mul_f16_e32 v48, v28, v20
	v_mul_f16_e32 v100, v47, v20
	;; [unrolled: 1-line block ×4, first 2 shown]
	v_fmac_f16_e32 v98, v22, v52
	v_fma_f16 v99, v27, v52, -v99
	v_fmac_f16_e32 v35, v68, v56
	v_fma_f16 v68, v44, v61, -v110
	v_fmac_f16_e32 v33, v64, v51
	v_fma_f16 v44, v32, v51, -v113
	v_fmac_f16_e32 v30, v63, v52
	v_fma_f16 v32, v29, v52, -v114
	v_add_f16_e32 v51, v14, v96
	v_add_f16_e32 v52, v21, v97
	v_lshrrev_b32_e32 v41, 16, v55
	v_lshrrev_b32_e32 v49, 16, v57
	v_mul_f16_e32 v42, v12, v31
	v_mul_f16_e32 v101, v13, v31
	;; [unrolled: 1-line block ×6, first 2 shown]
	v_fmac_f16_e32 v48, v47, v53
	v_mul_f16_e32 v31, v84, v94
	v_mul_f16_e32 v47, v72, v94
	v_fma_f16 v94, v28, v53, -v100
	v_add_f16_e32 v51, v51, v98
	v_add_f16_e32 v52, v52, v99
	v_mul_f16_e32 v37, v43, v41
	v_mul_f16_e32 v102, v70, v41
	;; [unrolled: 1-line block ×6, first 2 shown]
	v_fmac_f16_e32 v42, v13, v54
	v_fma_f16 v49, v12, v54, -v101
	v_add_f16_e32 v51, v51, v48
	v_add_f16_e32 v52, v52, v94
	v_lshrrev_b32_e32 v95, 16, v62
	v_fmac_f16_e32 v37, v70, v55
	v_fma_f16 v43, v43, v55, -v102
	v_add_f16_e32 v51, v51, v42
	v_add_f16_e32 v52, v52, v49
	v_lshrrev_b32_e32 v91, 16, v58
	v_mul_f16_e32 v112, v79, v95
	v_fma_f16 v39, v39, v56, -v103
	v_add_f16_e32 v51, v51, v37
	v_add_f16_e32 v52, v52, v43
	v_lshrrev_b32_e32 v92, 16, v59
	v_mul_f16_e32 v38, v18, v91
	v_mul_f16_e32 v105, v23, v91
	;; [unrolled: 1-line block ×5, first 2 shown]
	v_fmac_f16_e32 v36, v66, v57
	v_fma_f16 v40, v40, v57, -v104
	v_fma_f16 v70, v89, v62, -v112
	v_add_f16_e32 v51, v51, v35
	v_add_f16_e32 v52, v52, v39
	v_lshrrev_b32_e32 v93, 16, v60
	v_mul_f16_e32 v46, v50, v92
	v_mul_f16_e32 v106, v77, v92
	;; [unrolled: 1-line block ×8, first 2 shown]
	v_fmac_f16_e32 v38, v23, v58
	v_fma_f16 v45, v18, v58, -v105
	v_fmac_f16_e32 v111, v79, v62
	v_fmac_f16_e32 v20, v71, v54
	v_fma_f16 v23, v83, v54, -v116
	v_fmac_f16_e32 v9, v67, v56
	v_fma_f16 v12, v81, v56, -v118
	v_add_f16_e32 v54, v97, v70
	v_sub_f16_e32 v56, v97, v70
	v_add_f16_e32 v51, v51, v36
	v_add_f16_e32 v52, v52, v40
	v_mul_f16_e32 v107, v86, v93
	v_mul_f16_e32 v108, v75, v93
	;; [unrolled: 1-line block ×6, first 2 shown]
	v_fmac_f16_e32 v46, v77, v59
	v_fma_f16 v50, v50, v59, -v106
	v_fmac_f16_e32 v109, v73, v61
	v_fmac_f16_e32 v25, v24, v53
	v_fma_f16 v28, v19, v53, -v115
	v_fmac_f16_e32 v15, v69, v55
	v_fma_f16 v18, v82, v55, -v117
	;; [unrolled: 2-line block ×6, first 2 shown]
	v_add_f16_e32 v53, v96, v111
	v_sub_f16_e32 v55, v96, v111
	v_add_f16_e32 v58, v99, v68
	v_mul_f16_e32 v61, 0xb770, v56
	v_mul_f16_e32 v62, 0x3b15, v54
	v_mul_f16_e32 v63, 0xba95, v56
	v_mul_f16_e32 v64, 0x388b, v54
	v_mul_f16_e32 v65, 0xbbf1, v56
	v_mul_f16_e32 v67, 0x2fb7, v54
	v_mul_f16_e32 v69, 0xbb7b, v56
	v_mul_f16_e32 v71, 0xb5ac, v54
	v_mul_f16_e32 v72, 0xb94e, v56
	v_mul_f16_e32 v73, 0xb9fd, v54
	v_mul_f16_e32 v56, 0xb3a8, v56
	v_mul_f16_e32 v54, 0xbbc4, v54
	v_add_f16_e32 v51, v51, v38
	v_add_f16_e32 v52, v52, v45
	v_fmac_f16_e32 v107, v75, v60
	v_fma_f16 v66, v86, v60, -v108
	v_fmac_f16_e32 v22, v76, v59
	v_fma_f16 v24, v87, v59, -v92
	v_fma_f16 v29, v85, v60, -v93
	v_sub_f16_e32 v59, v98, v109
	v_mul_f16_e32 v75, 0x388b, v58
	v_fmamk_f16 v80, v53, 0x3b15, v61
	v_fmamk_f16 v81, v55, 0x3770, v62
	v_fma_f16 v61, v53, 0x3b15, -v61
	v_fmac_f16_e32 v62, 0xb770, v55
	v_fmamk_f16 v82, v53, 0x388b, v63
	v_fmamk_f16 v83, v55, 0x3a95, v64
	v_fma_f16 v63, v53, 0x388b, -v63
	v_fmac_f16_e32 v64, 0xba95, v55
	;; [unrolled: 4-line block ×5, first 2 shown]
	v_fmamk_f16 v90, v53, 0xbbc4, v56
	v_fma_f16 v53, v53, 0xbbc4, -v56
	v_fmamk_f16 v56, v55, 0x33a8, v54
	v_fmac_f16_e32 v54, 0xb3a8, v55
	v_add_f16_e32 v51, v51, v46
	v_add_f16_e32 v52, v52, v50
	v_fmac_f16_e32 v27, v74, v60
	v_sub_f16_e32 v60, v99, v68
	v_mul_f16_e32 v77, 0xb5ac, v58
	v_fmamk_f16 v91, v59, 0x3a95, v75
	v_add_f16_e32 v80, v14, v80
	v_add_f16_e32 v61, v14, v61
	;; [unrolled: 1-line block ×27, first 2 shown]
	v_mul_f16_e32 v76, 0xbb7b, v60
	v_fmamk_f16 v93, v59, 0x3b7b, v77
	v_fmac_f16_e32 v77, 0xbb7b, v59
	v_add_f16_e32 v52, v91, v14
	v_add_f16_e32 v14, v21, v109
	;; [unrolled: 1-line block ×3, first 2 shown]
	v_mul_f16_e32 v78, 0xb3a8, v60
	v_fmamk_f16 v92, v57, 0xb5ac, v76
	v_fma_f16 v76, v57, 0xb5ac, -v76
	v_add_f16_e32 v21, v14, v111
	v_add_f16_e32 v14, v51, v70
	;; [unrolled: 1-line block ×3, first 2 shown]
	v_mul_f16_e32 v64, 0x394e, v60
	v_mul_f16_e32 v74, 0xba95, v60
	;; [unrolled: 1-line block ×3, first 2 shown]
	v_add_f16_e32 v63, v76, v63
	v_fma_f16 v76, v57, 0xbbc4, -v78
	v_fmamk_f16 v77, v57, 0xb9fd, v64
	v_fmamk_f16 v55, v57, 0x388b, v74
	v_fma_f16 v74, v57, 0x388b, -v74
	v_fmamk_f16 v95, v57, 0xbbc4, v78
	v_fmamk_f16 v70, v59, 0x33a8, v79
	v_fmac_f16_e32 v79, 0xb3a8, v59
	v_mul_f16_e32 v78, 0xb9fd, v58
	v_add_f16_e32 v65, v76, v65
	v_add_f16_e32 v76, v77, v86
	v_mul_f16_e32 v77, 0x3bf1, v60
	v_add_f16_e32 v55, v55, v80
	v_add_f16_e32 v61, v74, v61
	;; [unrolled: 1-line block ×4, first 2 shown]
	v_fmamk_f16 v79, v59, 0xb94e, v78
	v_fma_f16 v64, v57, 0xb9fd, -v64
	v_mul_f16_e32 v80, 0x2fb7, v58
	v_fmac_f16_e32 v78, 0x394e, v59
	v_fmamk_f16 v81, v57, 0x2fb7, v77
	v_mul_f16_e32 v60, 0x3770, v60
	v_fma_f16 v77, v57, 0x2fb7, -v77
	v_add_f16_e32 v64, v64, v69
	v_fmamk_f16 v69, v59, 0xbbf1, v80
	v_add_f16_e32 v71, v78, v71
	v_add_f16_e32 v78, v81, v88
	v_fmac_f16_e32 v80, 0x3bf1, v59
	v_fmamk_f16 v81, v57, 0x3b15, v60
	v_add_f16_e32 v72, v77, v72
	v_sub_f16_e32 v77, v94, v66
	v_add_f16_e32 v70, v70, v83
	v_mul_f16_e32 v58, 0x3b15, v58
	v_add_f16_e32 v73, v80, v73
	v_add_f16_e32 v80, v81, v90
	;; [unrolled: 1-line block ×3, first 2 shown]
	v_mul_f16_e32 v83, 0xbbf1, v77
	v_add_f16_e32 v66, v94, v66
	v_fmac_f16_e32 v75, 0xba95, v59
	v_add_f16_e32 v68, v92, v82
	v_fmamk_f16 v82, v59, 0xb770, v58
	v_fma_f16 v57, v57, 0x3b15, -v60
	v_fmac_f16_e32 v58, 0x3770, v59
	v_fmamk_f16 v59, v81, 0x2fb7, v83
	v_sub_f16_e32 v48, v48, v107
	v_mul_f16_e32 v60, 0x2fb7, v66
	v_add_f16_e32 v62, v75, v62
	v_add_f16_e32 v56, v82, v56
	;; [unrolled: 1-line block ×5, first 2 shown]
	v_mul_f16_e32 v57, 0xb3a8, v77
	v_fmamk_f16 v58, v48, 0x3bf1, v60
	v_fma_f16 v59, v81, 0x2fb7, -v83
	v_fmac_f16_e32 v60, 0xbbf1, v48
	v_mul_f16_e32 v82, 0xbbc4, v66
	v_fmamk_f16 v83, v81, 0xbbc4, v57
	v_add_f16_e32 v52, v58, v52
	v_add_f16_e32 v58, v59, v61
	v_add_f16_e32 v59, v60, v62
	v_fmamk_f16 v60, v48, 0x33a8, v82
	v_mul_f16_e32 v62, 0x3b7b, v77
	v_fma_f16 v57, v81, 0xbbc4, -v57
	v_add_f16_e32 v75, v95, v84
	v_add_f16_e32 v61, v83, v68
	v_fmac_f16_e32 v82, 0xb3a8, v48
	v_add_f16_e32 v60, v60, v74
	v_mul_f16_e32 v68, 0xb5ac, v66
	v_fmamk_f16 v74, v81, 0xb5ac, v62
	v_add_f16_e32 v57, v57, v63
	v_mul_f16_e32 v63, 0x3770, v77
	v_add_f16_e32 v51, v82, v51
	v_fmamk_f16 v82, v48, 0xbb7b, v68
	v_add_f16_e32 v74, v74, v75
	v_fma_f16 v62, v81, 0xb5ac, -v62
	v_fmac_f16_e32 v68, 0x3b7b, v48
	v_fmamk_f16 v75, v81, 0x3b15, v63
	v_fma_f16 v63, v81, 0x3b15, -v63
	v_add_f16_e32 v69, v69, v87
	v_add_f16_e32 v62, v62, v65
	;; [unrolled: 1-line block ×4, first 2 shown]
	v_mul_f16_e32 v68, 0xba95, v77
	v_mul_f16_e32 v76, 0x388b, v66
	v_add_f16_e32 v70, v82, v70
	v_mul_f16_e32 v82, 0x3b15, v66
	v_add_f16_e32 v63, v63, v64
	v_fmamk_f16 v83, v81, 0x388b, v68
	v_fmamk_f16 v64, v48, 0x3a95, v76
	v_mul_f16_e32 v77, 0xb94e, v77
	v_fma_f16 v68, v81, 0x388b, -v68
	v_add_f16_e32 v79, v79, v85
	v_fmamk_f16 v75, v48, 0xb770, v82
	v_add_f16_e32 v64, v64, v69
	v_mul_f16_e32 v66, 0xb9fd, v66
	v_fmac_f16_e32 v76, 0xba95, v48
	v_fmamk_f16 v69, v81, 0xb9fd, v77
	v_add_f16_e32 v68, v68, v72
	v_sub_f16_e32 v72, v49, v50
	v_add_f16_e32 v75, v75, v79
	v_fmamk_f16 v79, v48, 0x394e, v66
	v_add_f16_e32 v73, v76, v73
	v_add_f16_e32 v69, v69, v80
	v_add_f16_e32 v76, v42, v46
	v_mul_f16_e32 v80, 0xbb7b, v72
	v_add_f16_e32 v49, v49, v50
	v_fma_f16 v50, v81, 0xb9fd, -v77
	v_fmac_f16_e32 v66, 0xb94e, v48
	v_fmac_f16_e32 v82, 0x3770, v48
	v_fmamk_f16 v48, v76, 0xb5ac, v80
	v_sub_f16_e32 v42, v42, v46
	v_mul_f16_e32 v46, 0xb5ac, v49
	v_add_f16_e32 v50, v50, v53
	v_add_f16_e32 v53, v66, v54
	v_mul_f16_e32 v54, 0x394e, v72
	v_add_f16_e32 v56, v79, v56
	v_add_f16_e32 v48, v48, v55
	v_fmamk_f16 v55, v42, 0x3b7b, v46
	v_fma_f16 v66, v76, 0xb5ac, -v80
	v_fmac_f16_e32 v46, 0xbb7b, v42
	v_mul_f16_e32 v77, 0xb9fd, v49
	v_fmamk_f16 v79, v76, 0xb9fd, v54
	v_add_f16_e32 v52, v55, v52
	v_add_f16_e32 v55, v66, v58
	;; [unrolled: 1-line block ×3, first 2 shown]
	v_fmamk_f16 v58, v42, 0xb94e, v77
	v_add_f16_e32 v59, v79, v61
	v_mul_f16_e32 v61, 0x3770, v72
	v_fma_f16 v54, v76, 0xb9fd, -v54
	v_fmac_f16_e32 v77, 0x394e, v42
	v_add_f16_e32 v58, v58, v60
	v_mul_f16_e32 v60, 0x3b15, v49
	v_fmamk_f16 v66, v76, 0x3b15, v61
	v_add_f16_e32 v54, v54, v57
	v_mul_f16_e32 v57, 0xbbf1, v72
	v_add_f16_e32 v51, v77, v51
	v_fmamk_f16 v77, v42, 0xb770, v60
	v_add_f16_e32 v66, v66, v74
	v_fma_f16 v61, v76, 0x3b15, -v61
	v_fmac_f16_e32 v60, 0x3770, v42
	v_fmamk_f16 v74, v76, 0x2fb7, v57
	v_fma_f16 v57, v76, 0x2fb7, -v57
	v_add_f16_e32 v70, v77, v70
	v_add_f16_e32 v61, v61, v62
	;; [unrolled: 1-line block ×4, first 2 shown]
	v_mul_f16_e32 v65, 0x33a8, v72
	v_mul_f16_e32 v74, 0xbbc4, v49
	v_add_f16_e32 v57, v57, v63
	v_mul_f16_e32 v72, 0x3a95, v72
	v_mul_f16_e32 v77, 0x2fb7, v49
	v_fmamk_f16 v79, v76, 0xbbc4, v65
	v_fmamk_f16 v63, v42, 0xb3a8, v74
	v_fma_f16 v65, v76, 0xbbc4, -v65
	v_fmac_f16_e32 v74, 0x33a8, v42
	v_add_f16_e32 v71, v82, v71
	v_fmamk_f16 v67, v42, 0x3bf1, v77
	v_add_f16_e32 v63, v63, v64
	v_fmamk_f16 v64, v76, 0x388b, v72
	v_add_f16_e32 v65, v65, v68
	v_sub_f16_e32 v68, v43, v45
	v_fmac_f16_e32 v77, 0xbbf1, v42
	v_mul_f16_e32 v49, 0x388b, v49
	v_add_f16_e32 v73, v74, v73
	v_add_f16_e32 v64, v64, v69
	;; [unrolled: 1-line block ×3, first 2 shown]
	v_mul_f16_e32 v74, 0xb94e, v68
	v_add_f16_e32 v43, v43, v45
	v_add_f16_e32 v71, v77, v71
	v_fmamk_f16 v77, v42, 0xba95, v49
	v_fma_f16 v45, v76, 0x388b, -v72
	v_fmac_f16_e32 v49, 0x3a95, v42
	v_fmamk_f16 v42, v69, 0xb9fd, v74
	v_sub_f16_e32 v37, v37, v38
	v_mul_f16_e32 v38, 0xb9fd, v43
	v_add_f16_e32 v45, v45, v50
	v_mul_f16_e32 v72, 0x2fb7, v43
	v_add_f16_e32 v42, v42, v48
	v_mul_f16_e32 v48, 0x3bf1, v68
	v_fmamk_f16 v50, v37, 0x394e, v38
	v_fmac_f16_e32 v38, 0xb94e, v37
	v_add_f16_e32 v49, v49, v53
	v_fma_f16 v53, v69, 0xb9fd, -v74
	v_fmamk_f16 v74, v69, 0x2fb7, v48
	v_add_f16_e32 v52, v50, v52
	v_add_f16_e32 v38, v38, v46
	v_fmamk_f16 v46, v37, 0xbbf1, v72
	v_mul_f16_e32 v50, 0xba95, v68
	v_fma_f16 v48, v69, 0x2fb7, -v48
	v_fmac_f16_e32 v72, 0x3bf1, v37
	v_add_f16_e32 v53, v53, v55
	v_add_f16_e32 v55, v74, v59
	;; [unrolled: 1-line block ×3, first 2 shown]
	v_mul_f16_e32 v58, 0x388b, v43
	v_fmamk_f16 v59, v69, 0x388b, v50
	v_add_f16_e32 v48, v48, v54
	v_add_f16_e32 v54, v72, v51
	v_mul_f16_e32 v51, 0x33a8, v68
	v_fmamk_f16 v72, v37, 0x3a95, v58
	v_add_f16_e32 v59, v59, v66
	v_fma_f16 v50, v69, 0x388b, -v50
	v_fmac_f16_e32 v58, 0xba95, v37
	v_fmamk_f16 v66, v69, 0xbbc4, v51
	v_add_f16_e32 v78, v83, v78
	v_add_f16_e32 v70, v72, v70
	v_mul_f16_e32 v72, 0xbbc4, v43
	v_add_f16_e32 v61, v50, v61
	v_add_f16_e32 v58, v58, v60
	v_add_f16_e32 v60, v66, v62
	v_mul_f16_e32 v50, 0x3770, v68
	v_fma_f16 v51, v69, 0xbbc4, -v51
	v_mul_f16_e32 v66, 0x3b15, v43
	v_add_f16_e32 v67, v67, v75
	v_add_f16_e32 v75, v79, v78
	v_fmamk_f16 v62, v37, 0xb3a8, v72
	v_fmac_f16_e32 v72, 0x33a8, v37
	v_fmamk_f16 v74, v69, 0x3b15, v50
	v_add_f16_e32 v57, v51, v57
	v_fmamk_f16 v51, v37, 0xb770, v66
	v_mul_f16_e32 v68, 0xbb7b, v68
	v_add_f16_e32 v62, v62, v67
	v_add_f16_e32 v67, v72, v71
	;; [unrolled: 1-line block ×4, first 2 shown]
	v_fmac_f16_e32 v66, 0x3770, v37
	v_fmamk_f16 v51, v69, 0xb5ac, v68
	v_sub_f16_e32 v74, v39, v40
	v_mul_f16_e32 v43, 0xb5ac, v43
	v_add_f16_e32 v75, v39, v40
	v_add_f16_e32 v66, v66, v73
	;; [unrolled: 1-line block ×4, first 2 shown]
	v_mul_f16_e32 v51, 0xb3a8, v74
	v_fma_f16 v50, v69, 0x3b15, -v50
	v_fmamk_f16 v72, v37, 0x3b7b, v43
	v_fma_f16 v39, v69, 0xb5ac, -v68
	v_fmac_f16_e32 v43, 0xbb7b, v37
	v_sub_f16_e32 v68, v35, v36
	v_fmamk_f16 v35, v73, 0xbbc4, v51
	v_mul_f16_e32 v37, 0xbbc4, v75
	v_add_f16_e32 v65, v50, v65
	v_add_f16_e32 v69, v39, v45
	;; [unrolled: 1-line block ×3, first 2 shown]
	v_mul_f16_e32 v39, 0x3770, v74
	v_add_f16_e32 v50, v35, v42
	v_fmamk_f16 v35, v68, 0x33a8, v37
	v_fma_f16 v40, v73, 0xbbc4, -v51
	v_fmac_f16_e32 v37, 0xb3a8, v68
	v_mul_f16_e32 v43, 0x3b15, v75
	v_fmamk_f16 v42, v73, 0x3b15, v39
	v_add_f16_e32 v36, v35, v52
	v_add_f16_e32 v49, v40, v53
	;; [unrolled: 1-line block ×3, first 2 shown]
	v_fmamk_f16 v37, v68, 0xb770, v43
	v_mul_f16_e32 v40, 0xb94e, v74
	v_fmac_f16_e32 v43, 0x3770, v68
	v_add_f16_e32 v51, v42, v55
	v_fma_f16 v39, v73, 0x3b15, -v39
	v_mul_f16_e32 v42, 0xb9fd, v75
	v_add_f16_e32 v38, v37, v46
	v_fmamk_f16 v45, v73, 0xb9fd, v40
	v_add_f16_e32 v37, v43, v54
	v_fma_f16 v43, v73, 0xb9fd, -v40
	v_add_f16_e32 v52, v39, v48
	v_fmamk_f16 v39, v68, 0x394e, v42
	v_add_f16_e32 v54, v45, v59
	v_fmac_f16_e32 v42, 0xb94e, v68
	v_mul_f16_e32 v45, 0x3a95, v74
	v_add_f16_e32 v53, v43, v61
	v_mul_f16_e32 v43, 0x388b, v75
	v_add_f16_e32 v46, v17, v33
	v_add_f16_e32 v48, v26, v44
	;; [unrolled: 1-line block ×5, first 2 shown]
	v_fmamk_f16 v42, v73, 0x388b, v45
	v_fmamk_f16 v55, v68, 0xba95, v43
	v_fma_f16 v45, v73, 0x388b, -v45
	v_add_f16_e32 v46, v46, v30
	v_add_f16_e32 v48, v48, v32
	;; [unrolled: 1-line block ×8, first 2 shown]
	v_mul_f16_e32 v48, 0xbb7b, v74
	v_mul_f16_e32 v59, 0xb5ac, v75
	v_fmac_f16_e32 v43, 0x3a95, v68
	v_add_f16_e32 v45, v45, v20
	v_add_f16_e32 v46, v46, v23
	v_fmamk_f16 v57, v73, 0xb5ac, v48
	v_fma_f16 v48, v73, 0xb5ac, -v48
	v_fmamk_f16 v60, v68, 0x3b7b, v59
	v_add_f16_e32 v61, v45, v15
	v_add_f16_e32 v46, v46, v18
	;; [unrolled: 1-line block ×7, first 2 shown]
	v_mul_f16_e32 v61, 0x2fb7, v75
	v_fmac_f16_e32 v59, 0xbb7b, v68
	v_mul_f16_e32 v60, 0x3bf1, v74
	v_add_f16_e32 v48, v48, v11
	v_add_f16_e32 v62, v46, v13
	v_fmamk_f16 v63, v68, 0xbbf1, v61
	v_add_f16_e32 v46, v59, v66
	v_fmamk_f16 v59, v73, 0x2fb7, v60
	v_add_f16_e32 v65, v48, v16
	v_add_f16_e32 v62, v62, v19
	;; [unrolled: 1-line block ×7, first 2 shown]
	v_sub_f16_e32 v64, v44, v47
	v_fma_f16 v60, v73, 0x2fb7, -v60
	v_add_f16_e32 v65, v33, v41
	v_add_f16_e32 v63, v63, v27
	;; [unrolled: 1-line block ×3, first 2 shown]
	v_mul_f16_e32 v66, 0xb770, v64
	v_add_f16_e32 v67, v44, v47
	v_sub_f16_e32 v85, v32, v34
	v_add_f16_e32 v63, v63, v31
	v_add_f16_e32 v62, v62, v34
	;; [unrolled: 1-line block ×3, first 2 shown]
	v_fmac_f16_e32 v61, 0x3bf1, v68
	v_sub_f16_e32 v68, v33, v41
	v_fmamk_f16 v69, v65, 0x3b15, v66
	v_mul_f16_e32 v70, 0x3b15, v67
	v_add_f16_e32 v41, v63, v41
	v_add_f16_e32 v33, v62, v47
	v_mul_f16_e32 v62, 0xba95, v64
	v_fma_f16 v63, v65, 0x3b15, -v66
	v_mul_f16_e32 v66, 0x388b, v67
	v_mul_f16_e32 v72, 0xbbf1, v64
	;; [unrolled: 1-line block ×9, first 2 shown]
	v_add_f16_e32 v87, v30, v31
	v_mul_f16_e32 v88, 0xba95, v85
	v_add_f16_e32 v32, v32, v34
	v_add_f16_e32 v44, v61, v76
	;; [unrolled: 1-line block ×3, first 2 shown]
	v_fmamk_f16 v61, v68, 0x3770, v70
	v_fmac_f16_e32 v70, 0xb770, v68
	v_fmamk_f16 v69, v65, 0x388b, v62
	v_fmamk_f16 v71, v68, 0x3a95, v66
	v_fma_f16 v62, v65, 0x388b, -v62
	v_fmac_f16_e32 v66, 0xba95, v68
	v_fmamk_f16 v73, v65, 0x2fb7, v72
	v_fmamk_f16 v76, v68, 0x3bf1, v74
	v_fma_f16 v72, v65, 0x2fb7, -v72
	;; [unrolled: 4-line block ×5, first 2 shown]
	v_fmac_f16_e32 v67, 0xb3a8, v68
	v_sub_f16_e32 v30, v30, v31
	v_fmamk_f16 v31, v87, 0x388b, v88
	v_mul_f16_e32 v64, 0x388b, v32
	v_add_f16_e32 v61, v26, v61
	v_add_f16_e32 v63, v17, v63
	;; [unrolled: 1-line block ×24, first 2 shown]
	v_fmamk_f16 v34, v30, 0x3a95, v64
	v_mul_f16_e32 v47, 0xbb7b, v85
	v_fma_f16 v67, v87, 0x388b, -v88
	v_fmac_f16_e32 v64, 0xba95, v30
	v_mul_f16_e32 v68, 0xb5ac, v32
	v_add_f16_e32 v34, v34, v61
	v_fmamk_f16 v61, v87, 0xb5ac, v47
	v_add_f16_e32 v63, v67, v63
	v_add_f16_e32 v64, v64, v70
	v_fmamk_f16 v67, v30, 0x3b7b, v68
	v_mul_f16_e32 v70, 0xb3a8, v85
	v_fma_f16 v47, v87, 0xb5ac, -v47
	v_fmac_f16_e32 v68, 0xbb7b, v30
	v_add_f16_e32 v61, v61, v69
	v_add_f16_e32 v67, v67, v71
	v_fmamk_f16 v69, v87, 0xbbc4, v70
	v_mul_f16_e32 v71, 0xbbc4, v32
	v_add_f16_e32 v47, v47, v62
	v_add_f16_e32 v62, v68, v66
	v_mul_f16_e32 v66, 0x394e, v85
	v_add_f16_e32 v68, v69, v73
	v_fmamk_f16 v69, v30, 0x33a8, v71
	v_fma_f16 v70, v87, 0xbbc4, -v70
	v_fmac_f16_e32 v71, 0xb3a8, v30
	v_fmamk_f16 v73, v87, 0xb9fd, v66
	v_mul_f16_e32 v86, 0xb9fd, v32
	v_add_f16_e32 v69, v69, v76
	v_add_f16_e32 v70, v70, v72
	;; [unrolled: 1-line block ×4, first 2 shown]
	v_fmamk_f16 v73, v30, 0xb94e, v86
	v_mul_f16_e32 v74, 0x3bf1, v85
	v_fma_f16 v66, v87, 0xb9fd, -v66
	v_mul_f16_e32 v76, 0x2fb7, v32
	v_mul_f16_e32 v32, 0x3b15, v32
	v_add_f16_e32 v73, v73, v79
	v_fmamk_f16 v77, v87, 0x2fb7, v74
	v_mul_f16_e32 v79, 0x3770, v85
	v_fma_f16 v74, v87, 0x2fb7, -v74
	v_add_f16_e32 v66, v66, v75
	v_fmamk_f16 v75, v30, 0xbbf1, v76
	v_add_f16_e32 v77, v77, v82
	v_fmac_f16_e32 v76, 0x3bf1, v30
	v_fmamk_f16 v82, v87, 0x3b15, v79
	v_add_f16_e32 v74, v74, v80
	v_sub_f16_e32 v80, v28, v29
	v_add_f16_e32 v75, v75, v83
	v_add_f16_e32 v76, v76, v81
	v_add_f16_e32 v81, v82, v84
	v_add_f16_e32 v83, v25, v27
	v_mul_f16_e32 v84, 0xbbf1, v80
	v_add_f16_e32 v28, v28, v29
	v_fmac_f16_e32 v86, 0x394e, v30
	v_fmamk_f16 v82, v30, 0xb770, v32
	v_fma_f16 v29, v87, 0x3b15, -v79
	v_fmac_f16_e32 v32, 0x3770, v30
	v_sub_f16_e32 v25, v25, v27
	v_fmamk_f16 v27, v83, 0x2fb7, v84
	v_mul_f16_e32 v30, 0x2fb7, v28
	v_add_f16_e32 v17, v29, v17
	v_add_f16_e32 v26, v32, v26
	v_fma_f16 v32, v83, 0x2fb7, -v84
	v_add_f16_e32 v27, v27, v31
	v_fmamk_f16 v29, v25, 0x3bf1, v30
	v_mul_f16_e32 v31, 0xb3a8, v80
	v_fmac_f16_e32 v30, 0xbbf1, v25
	v_mul_f16_e32 v79, 0xbbc4, v28
	v_add_f16_e32 v32, v32, v63
	v_add_f16_e32 v29, v29, v34
	v_fmamk_f16 v34, v83, 0xbbc4, v31
	v_add_f16_e32 v30, v30, v64
	v_fmamk_f16 v63, v25, 0x33a8, v79
	v_mul_f16_e32 v64, 0x3b7b, v80
	v_add_f16_e32 v65, v82, v65
	v_add_f16_e32 v34, v34, v61
	v_fma_f16 v31, v83, 0xbbc4, -v31
	v_add_f16_e32 v61, v63, v67
	v_fmamk_f16 v63, v83, 0xb5ac, v64
	v_mul_f16_e32 v67, 0xb5ac, v28
	v_fmac_f16_e32 v79, 0xb3a8, v25
	v_fma_f16 v64, v83, 0xb5ac, -v64
	v_mul_f16_e32 v82, 0x3b15, v28
	v_add_f16_e32 v63, v63, v68
	v_fmamk_f16 v68, v25, 0xbb7b, v67
	v_fmac_f16_e32 v67, 0x3b7b, v25
	v_add_f16_e32 v31, v31, v47
	v_add_f16_e32 v47, v79, v62
	v_mul_f16_e32 v62, 0x3770, v80
	v_add_f16_e32 v64, v64, v70
	v_add_f16_e32 v67, v67, v71
	v_fmamk_f16 v70, v25, 0xb770, v82
	v_mul_f16_e32 v71, 0xba95, v80
	v_fmamk_f16 v79, v83, 0x3b15, v62
	v_add_f16_e32 v68, v68, v69
	v_fma_f16 v62, v83, 0x3b15, -v62
	v_add_f16_e32 v70, v70, v73
	v_fmamk_f16 v73, v83, 0x388b, v71
	v_fma_f16 v71, v83, 0x388b, -v71
	v_add_f16_e32 v69, v79, v72
	v_mul_f16_e32 v72, 0x388b, v28
	v_add_f16_e32 v62, v62, v66
	v_mul_f16_e32 v79, 0xb94e, v80
	v_add_f16_e32 v71, v71, v74
	v_sub_f16_e32 v74, v23, v24
	v_fmamk_f16 v66, v25, 0x3a95, v72
	v_add_f16_e32 v73, v73, v77
	v_fmac_f16_e32 v72, 0xba95, v25
	v_mul_f16_e32 v28, 0xb9fd, v28
	v_add_f16_e32 v77, v20, v22
	v_mul_f16_e32 v80, 0xbb7b, v74
	v_add_f16_e32 v23, v23, v24
	v_fmac_f16_e32 v82, 0x3770, v25
	v_add_f16_e32 v72, v72, v76
	v_fmamk_f16 v76, v25, 0x394e, v28
	v_fma_f16 v24, v83, 0xb9fd, -v79
	v_fmac_f16_e32 v28, 0xb94e, v25
	v_sub_f16_e32 v20, v20, v22
	v_fmamk_f16 v22, v77, 0xb5ac, v80
	v_mul_f16_e32 v25, 0xb5ac, v23
	v_add_f16_e32 v65, v76, v65
	v_add_f16_e32 v17, v24, v17
	;; [unrolled: 1-line block ×4, first 2 shown]
	v_fmamk_f16 v26, v20, 0x3b7b, v25
	v_mul_f16_e32 v27, 0x394e, v74
	v_fma_f16 v28, v77, 0xb5ac, -v80
	v_fmac_f16_e32 v25, 0xbb7b, v20
	v_mul_f16_e32 v76, 0xb9fd, v23
	v_add_f16_e32 v26, v26, v29
	v_fmamk_f16 v29, v77, 0xb9fd, v27
	v_add_f16_e32 v28, v28, v32
	v_add_f16_e32 v25, v25, v30
	v_fmamk_f16 v30, v20, 0xb94e, v76
	v_mul_f16_e32 v32, 0x3770, v74
	v_fma_f16 v27, v77, 0xb9fd, -v27
	v_fmac_f16_e32 v76, 0x394e, v20
	v_add_f16_e32 v29, v29, v34
	v_add_f16_e32 v30, v30, v61
	v_fmamk_f16 v34, v77, 0x3b15, v32
	v_mul_f16_e32 v61, 0x3b15, v23
	v_add_f16_e32 v27, v27, v31
	v_add_f16_e32 v31, v76, v47
	v_mul_f16_e32 v47, 0xbbf1, v74
	v_add_f16_e32 v66, v66, v75
	v_fmamk_f16 v75, v83, 0xb9fd, v79
	v_add_f16_e32 v34, v34, v63
	v_fmamk_f16 v63, v20, 0xb770, v61
	v_fma_f16 v32, v77, 0x3b15, -v32
	v_fmac_f16_e32 v61, 0x3770, v20
	v_fmamk_f16 v76, v77, 0x2fb7, v47
	v_mul_f16_e32 v79, 0x2fb7, v23
	v_add_f16_e32 v63, v63, v68
	v_add_f16_e32 v32, v32, v64
	;; [unrolled: 1-line block ×4, first 2 shown]
	v_fmamk_f16 v67, v20, 0x3bf1, v79
	v_mul_f16_e32 v68, 0x33a8, v74
	v_fma_f16 v47, v77, 0x2fb7, -v47
	v_mul_f16_e32 v69, 0xbbc4, v23
	v_mul_f16_e32 v74, 0x3a95, v74
	v_add_f16_e32 v67, v67, v70
	v_fmamk_f16 v70, v77, 0xbbc4, v68
	v_add_f16_e32 v47, v47, v62
	v_fmamk_f16 v62, v20, 0xb3a8, v69
	v_fma_f16 v68, v77, 0xbbc4, -v68
	v_add_f16_e32 v75, v75, v81
	v_add_f16_e32 v70, v70, v73
	v_fmac_f16_e32 v69, 0x33a8, v20
	v_add_f16_e32 v62, v62, v66
	v_fmamk_f16 v66, v77, 0x388b, v74
	v_add_f16_e32 v68, v68, v71
	v_sub_f16_e32 v71, v18, v19
	v_mul_f16_e32 v23, 0x388b, v23
	v_add_f16_e32 v73, v15, v16
	v_add_f16_e32 v66, v66, v75
	;; [unrolled: 1-line block ×3, first 2 shown]
	v_mul_f16_e32 v75, 0xb94e, v71
	v_fmac_f16_e32 v79, 0xbbf1, v20
	v_add_f16_e32 v69, v69, v72
	v_fmamk_f16 v72, v20, 0xba95, v23
	v_fma_f16 v19, v77, 0x388b, -v74
	v_fmac_f16_e32 v23, 0x3a95, v20
	v_sub_f16_e32 v15, v15, v16
	v_fmamk_f16 v16, v73, 0xb9fd, v75
	v_mul_f16_e32 v20, 0xb9fd, v18
	v_add_f16_e32 v65, v72, v65
	v_add_f16_e32 v17, v19, v17
	;; [unrolled: 1-line block ×4, first 2 shown]
	v_fmamk_f16 v22, v15, 0x394e, v20
	v_mul_f16_e32 v23, 0x3bf1, v71
	v_fma_f16 v24, v73, 0xb9fd, -v75
	v_fmac_f16_e32 v20, 0xb94e, v15
	v_mul_f16_e32 v72, 0x2fb7, v18
	v_add_f16_e32 v22, v22, v26
	v_fmamk_f16 v26, v73, 0x2fb7, v23
	v_add_f16_e32 v24, v24, v28
	v_add_f16_e32 v20, v20, v25
	v_fmamk_f16 v25, v15, 0xbbf1, v72
	v_mul_f16_e32 v28, 0xba95, v71
	v_add_f16_e32 v26, v26, v29
	v_fma_f16 v23, v73, 0x2fb7, -v23
	v_fmac_f16_e32 v72, 0x3bf1, v15
	v_add_f16_e32 v25, v25, v30
	v_fmamk_f16 v29, v73, 0x388b, v28
	v_mul_f16_e32 v30, 0x388b, v18
	v_add_f16_e32 v23, v23, v27
	v_add_f16_e32 v27, v72, v31
	v_mul_f16_e32 v31, 0x33a8, v71
	v_add_f16_e32 v29, v29, v34
	v_fmamk_f16 v34, v15, 0x3a95, v30
	v_fmac_f16_e32 v30, 0xba95, v15
	v_mul_f16_e32 v74, 0xbbc4, v18
	v_fma_f16 v28, v73, 0x388b, -v28
	v_fmamk_f16 v72, v73, 0xbbc4, v31
	v_add_f16_e32 v34, v34, v63
	v_add_f16_e32 v30, v30, v61
	v_fmamk_f16 v61, v15, 0xb3a8, v74
	v_mul_f16_e32 v63, 0x3770, v71
	v_add_f16_e32 v28, v28, v32
	v_add_f16_e32 v32, v72, v64
	v_fma_f16 v31, v73, 0xbbc4, -v31
	v_mul_f16_e32 v64, 0x3b15, v18
	v_add_f16_e32 v61, v61, v67
	v_fmamk_f16 v67, v73, 0x3b15, v63
	v_fma_f16 v63, v73, 0x3b15, -v63
	v_add_f16_e32 v31, v31, v47
	v_fmamk_f16 v47, v15, 0xb770, v64
	v_mul_f16_e32 v71, 0xbb7b, v71
	v_fmac_f16_e32 v64, 0x3770, v15
	v_add_f16_e32 v63, v63, v68
	v_sub_f16_e32 v68, v12, v13
	v_add_f16_e32 v67, v67, v70
	v_add_f16_e32 v47, v47, v62
	v_fmamk_f16 v62, v73, 0xb5ac, v71
	v_mul_f16_e32 v18, 0xb5ac, v18
	v_add_f16_e32 v64, v64, v69
	v_add_f16_e32 v69, v9, v11
	v_mul_f16_e32 v70, 0xb3a8, v68
	v_add_f16_e32 v12, v12, v13
	v_fmac_f16_e32 v74, 0x33a8, v15
	v_add_f16_e32 v62, v62, v66
	v_fmamk_f16 v66, v15, 0x3b7b, v18
	v_fma_f16 v13, v73, 0xb5ac, -v71
	v_fmac_f16_e32 v18, 0xbb7b, v15
	v_sub_f16_e32 v9, v9, v11
	v_fmamk_f16 v11, v69, 0xbbc4, v70
	v_mul_f16_e32 v15, 0xbbc4, v12
	v_add_f16_e32 v65, v66, v65
	v_add_f16_e32 v13, v13, v17
	;; [unrolled: 1-line block ×4, first 2 shown]
	v_fmamk_f16 v16, v9, 0x33a8, v15
	v_mul_f16_e32 v18, 0x3770, v68
	v_fma_f16 v19, v69, 0xbbc4, -v70
	v_fmac_f16_e32 v15, 0xb3a8, v9
	v_mul_f16_e32 v66, 0x3b15, v12
	v_add_f16_e32 v16, v16, v22
	v_fmamk_f16 v22, v69, 0x3b15, v18
	v_add_f16_e32 v19, v19, v24
	v_add_f16_e32 v15, v15, v20
	v_fmamk_f16 v20, v9, 0xb770, v66
	v_mul_f16_e32 v24, 0xb94e, v68
	v_fma_f16 v18, v69, 0x3b15, -v18
	v_add_f16_e32 v22, v22, v26
	v_fmac_f16_e32 v66, 0x3770, v9
	v_add_f16_e32 v20, v20, v25
	v_fmamk_f16 v25, v69, 0xb9fd, v24
	v_mul_f16_e32 v26, 0xb9fd, v12
	v_add_f16_e32 v18, v18, v23
	v_mul_f16_e32 v23, 0x3a95, v68
	v_add_f16_e32 v27, v66, v27
	v_add_f16_e32 v25, v25, v29
	v_fmamk_f16 v29, v9, 0x394e, v26
	v_fma_f16 v24, v69, 0xb9fd, -v24
	v_fmac_f16_e32 v26, 0xb94e, v9
	v_fmamk_f16 v66, v69, 0x388b, v23
	v_mul_f16_e32 v70, 0x388b, v12
	v_add_f16_e32 v29, v29, v34
	v_add_f16_e32 v24, v24, v28
	;; [unrolled: 1-line block ×4, first 2 shown]
	v_fmamk_f16 v30, v9, 0xba95, v70
	v_mul_f16_e32 v32, 0xbb7b, v68
	v_mul_f16_e32 v34, 0xb5ac, v12
	;; [unrolled: 1-line block ×4, first 2 shown]
	v_add_f16_e32 v30, v30, v61
	v_fmamk_f16 v61, v69, 0xb5ac, v32
	v_fmamk_f16 v66, v9, 0x3b7b, v34
	v_fma_f16 v32, v69, 0xb5ac, -v32
	v_fmac_f16_e32 v34, 0xbb7b, v9
	v_fmac_f16_e32 v70, 0x3a95, v9
	v_add_f16_e32 v61, v61, v67
	v_lshrrev_b32_e32 v67, 1, v0
	v_add_f16_e32 v32, v32, v63
	v_add_f16_e32 v34, v34, v64
	v_fmamk_f16 v64, v9, 0xbbf1, v12
	v_fmac_f16_e32 v12, 0x3bf1, v9
	v_mul_u32_u24_e32 v63, 26, v67
	v_lshrrev_b32_e32 v9, 1, v10
	v_add_f16_e32 v47, v66, v47
	v_fmamk_f16 v66, v69, 0x2fb7, v68
	v_fma_f16 v23, v69, 0x388b, -v23
	v_or_b32_e32 v63, v63, v4
	v_mul_u32_u24_e32 v9, 26, v9
	v_add_f16_e32 v12, v12, v17
	v_add_f16_e32 v62, v66, v62
	v_fma_f16 v66, v69, 0x2fb7, -v68
	v_lshl_add_u32 v17, v63, 1, 0
	v_or_b32_e32 v4, v9, v4
	v_subrev_nc_u32_e32 v9, 26, v0
	v_add_f16_e32 v78, v86, v78
	v_add_f16_e32 v13, v66, v13
	;; [unrolled: 1-line block ×3, first 2 shown]
	ds_store_b16 v17, v21
	ds_store_b16 v17, v50 offset:4
	ds_store_b16 v17, v51 offset:8
	;; [unrolled: 1-line block ×7, first 2 shown]
	v_lshl_add_u32 v21, v4, 1, 0
	ds_store_b16 v17, v57 offset:32
	ds_store_b16 v17, v55 offset:36
	;; [unrolled: 1-line block ×5, first 2 shown]
	ds_store_b16 v21, v41
	ds_store_b16 v21, v11 offset:4
	ds_store_b16 v21, v22 offset:8
	;; [unrolled: 1-line block ×12, first 2 shown]
	v_cndmask_b32_e64 v13, v9, v0, s0
	v_add_f16_e32 v78, v82, v78
	v_add_f16_e32 v64, v64, v65
	s_waitcnt lgkmcnt(0)
	s_barrier
	v_mul_i32_i24_e32 v4, 12, v13
	v_add_f16_e32 v76, v79, v78
	buffer_gl0_inv
	v_lshlrev_b32_e32 v13, 1, v13
	v_lshlrev_b64 v[4:5], 2, v[4:5]
	v_add_f16_e32 v72, v74, v76
	ds_load_u16 v23, v8
	ds_load_u16 v11, v8 offset:832
	ds_load_u16 v19, v8 offset:1664
	;; [unrolled: 1-line block ×25, first 2 shown]
	s_waitcnt lgkmcnt(0)
	s_barrier
	buffer_gl0_inv
	v_add_co_u32 v4, s1, s4, v4
	s_delay_alu instid0(VALU_DEP_1)
	v_add_co_ci_u32_e64 v5, s1, s5, v5, s1
	v_add_f16_e32 v31, v70, v72
	ds_store_b16 v17, v14
	ds_store_b16 v17, v36 offset:4
	ds_store_b16 v17, v38 offset:8
	;; [unrolled: 1-line block ×12, first 2 shown]
	ds_store_b16 v21, v33
	ds_store_b16 v21, v16 offset:4
	ds_store_b16 v21, v20 offset:8
	;; [unrolled: 1-line block ×12, first 2 shown]
	s_waitcnt lgkmcnt(0)
	s_barrier
	buffer_gl0_inv
	s_clause 0x1
	global_load_b128 v[15:18], v[4:5], off offset:96
	global_load_b128 v[27:30], v[4:5], off offset:112
	v_and_b32_e32 v12, 0xff, v10
	global_load_b128 v[31:34], v[4:5], off offset:128
	v_cmp_lt_u32_e64 s1, 25, v0
	v_mul_lo_u16 v12, 0x4f, v12
	s_delay_alu instid0(VALU_DEP_1) | instskip(NEXT) | instid1(VALU_DEP_1)
	v_lshrrev_b16 v26, 11, v12
	v_mul_lo_u16 v12, v26, 26
	v_and_b32_e32 v26, 0xffff, v26
	s_delay_alu instid0(VALU_DEP_2) | instskip(NEXT) | instid1(VALU_DEP_1)
	v_sub_nc_u16 v10, v10, v12
	v_and_b32_e32 v14, 0xff, v10
	s_delay_alu instid0(VALU_DEP_1) | instskip(SKIP_1) | instid1(VALU_DEP_2)
	v_mul_u32_u24_e32 v4, 12, v14
	v_lshlrev_b32_e32 v14, 1, v14
	v_lshlrev_b32_e32 v4, 2, v4
	s_clause 0x2
	global_load_b128 v[35:38], v4, s[4:5] offset:96
	global_load_b128 v[53:56], v4, s[4:5] offset:112
	;; [unrolled: 1-line block ×3, first 2 shown]
	ds_load_u16 v5, v8 offset:832
	ds_load_u16 v10, v8 offset:1664
	ds_load_u16 v12, v8 offset:728
	ds_load_u16 v20, v8 offset:624
	ds_load_u16 v21, v8 offset:520
	ds_load_u16 v39, v8 offset:416
	ds_load_u16 v40, v8 offset:312
	ds_load_u16 v42, v8 offset:208
	ds_load_u16 v44, v8 offset:1560
	ds_load_u16 v43, v8 offset:1456
	ds_load_u16 v47, v8 offset:1352
	ds_load_u16 v46, v8 offset:1248
	ds_load_u16 v92, v8 offset:1144
	ds_load_u16 v48, v8 offset:1040
	ds_load_u16 v93, v8 offset:936
	ds_load_u16 v94, v8 offset:2392
	ds_load_u16 v77, v8 offset:2288
	ds_load_u16 v95, v8 offset:2184
	ds_load_u16 v83, v8 offset:2080
	ds_load_u16 v96, v8 offset:1976
	ds_load_u16 v82, v8 offset:1872
	ds_load_u16 v97, v8 offset:1768
	ds_load_u16 v98, v8 offset:2496
	ds_load_u16 v99, v8 offset:2600
	ds_load_u16 v4, v8 offset:104
	s_waitcnt vmcnt(5)
	v_lshrrev_b32_e32 v45, 16, v15
	v_lshrrev_b32_e32 v64, 16, v16
	;; [unrolled: 1-line block ×4, first 2 shown]
	s_waitcnt lgkmcnt(17)
	v_mul_f16_e32 v80, v42, v45
	v_mul_f16_e32 v45, v50, v45
	;; [unrolled: 1-line block ×5, first 2 shown]
	v_fmac_f16_e32 v80, v50, v15
	v_fma_f16 v81, v42, v15, -v45
	v_fmac_f16_e32 v78, v49, v16
	v_fma_f16 v79, v39, v16, -v64
	v_mul_f16_e32 v15, v25, v66
	v_mul_f16_e32 v68, v5, v67
	;; [unrolled: 1-line block ×3, first 2 shown]
	v_fmac_f16_e32 v72, v25, v17
	s_waitcnt vmcnt(4)
	v_lshrrev_b32_e32 v25, 16, v27
	v_fma_f16 v73, v20, v17, -v15
	v_fmac_f16_e32 v68, v11, v18
	v_fma_f16 v69, v5, v18, -v16
	v_lshrrev_b32_e32 v5, 16, v28
	s_waitcnt lgkmcnt(11)
	v_mul_f16_e32 v64, v48, v25
	v_lshrrev_b32_e32 v11, 16, v29
	v_mul_f16_e32 v15, v65, v25
	v_lshrrev_b32_e32 v16, 16, v30
	v_mul_f16_e32 v45, v46, v5
	v_fmac_f16_e32 v64, v65, v27
	v_mul_f16_e32 v5, v63, v5
	v_fma_f16 v65, v48, v27, -v15
	v_mul_f16_e32 v48, v43, v11
	v_mul_f16_e32 v11, v52, v11
	;; [unrolled: 1-line block ×3, first 2 shown]
	v_fma_f16 v50, v46, v28, -v5
	v_mul_f16_e32 v5, v19, v16
	v_fmac_f16_e32 v48, v52, v29
	v_fma_f16 v52, v43, v29, -v11
	s_waitcnt vmcnt(3)
	v_lshrrev_b32_e32 v11, 16, v31
	v_lshrrev_b32_e32 v15, 16, v32
	v_fma_f16 v67, v10, v30, -v5
	v_lshrrev_b32_e32 v5, 16, v33
	s_waitcnt vmcnt(0)
	v_lshrrev_b32_e32 v27, 16, v57
	s_waitcnt lgkmcnt(4)
	v_mul_f16_e32 v70, v82, v11
	v_mul_f16_e32 v10, v71, v11
	v_lshrrev_b32_e32 v11, 16, v34
	v_mul_f16_e32 v74, v83, v15
	v_mul_f16_e32 v15, v75, v15
	v_fmac_f16_e32 v70, v71, v31
	v_fma_f16 v71, v82, v31, -v10
	v_mul_f16_e32 v82, v77, v5
	v_mul_f16_e32 v10, v90, v11
	;; [unrolled: 1-line block ×3, first 2 shown]
	v_fmac_f16_e32 v74, v75, v32
	v_fma_f16 v75, v83, v32, -v15
	v_fmac_f16_e32 v82, v76, v33
	s_waitcnt lgkmcnt(2)
	v_fma_f16 v76, v98, v34, -v10
	v_lshrrev_b32_e32 v10, 16, v37
	v_fma_f16 v77, v77, v33, -v5
	v_lshrrev_b32_e32 v5, 16, v36
	v_mul_f16_e32 v83, v98, v11
	v_lshrrev_b32_e32 v11, 16, v35
	v_mul_f16_e32 v25, v12, v10
	v_mul_f16_e32 v10, v24, v10
	v_lshrrev_b32_e32 v15, 16, v38
	v_mul_f16_e32 v33, v21, v5
	v_mul_f16_e32 v5, v41, v5
	;; [unrolled: 1-line block ×3, first 2 shown]
	v_fma_f16 v29, v12, v37, -v10
	v_lshrrev_b32_e32 v10, 16, v53
	v_mul_f16_e32 v11, v51, v11
	v_fma_f16 v39, v21, v36, -v5
	v_mul_f16_e32 v20, v93, v15
	v_mul_f16_e32 v5, v85, v15
	v_lshrrev_b32_e32 v15, 16, v55
	v_mul_f16_e32 v16, v92, v10
	v_mul_f16_e32 v10, v84, v10
	v_fma_f16 v46, v40, v35, -v11
	v_lshrrev_b32_e32 v11, 16, v54
	v_fmac_f16_e32 v25, v24, v37
	v_fma_f16 v21, v93, v38, -v5
	v_fma_f16 v17, v92, v53, -v10
	v_mul_f16_e32 v10, v61, v15
	v_mul_f16_e32 v5, v47, v11
	;; [unrolled: 1-line block ×5, first 2 shown]
	v_fma_f16 v15, v44, v55, -v10
	v_lshrrev_b32_e32 v10, 16, v58
	v_mul_f16_e32 v27, v88, v27
	v_fmac_f16_e32 v45, v63, v28
	v_fmac_f16_e32 v66, v19, v30
	;; [unrolled: 1-line block ×4, first 2 shown]
	v_lshrrev_b32_e32 v30, 16, v59
	v_lshrrev_b32_e32 v31, 16, v60
	v_mul_f16_e32 v35, v95, v10
	v_mul_f16_e32 v10, v87, v10
	v_fma_f16 v28, v96, v57, -v27
	v_sub_f16_e32 v27, v81, v76
	v_fma_f16 v12, v47, v54, -v12
	v_mul_f16_e32 v49, v94, v30
	v_fma_f16 v44, v95, v58, -v10
	v_mul_f16_e32 v10, v86, v30
	v_add_f16_e32 v30, v80, v83
	v_mul_f16_e32 v32, 0xb770, v27
	s_waitcnt lgkmcnt(1)
	v_mul_f16_e32 v63, v99, v31
	v_mul_f16_e32 v31, v91, v31
	v_mul_f16_e32 v40, 0xb94e, v27
	v_sub_f16_e32 v47, v79, v77
	v_fmac_f16_e32 v33, v41, v36
	v_lshrrev_b32_e32 v19, 16, v56
	v_fmac_f16_e32 v16, v84, v53
	v_fmac_f16_e32 v5, v62, v54
	;; [unrolled: 1-line block ×3, first 2 shown]
	v_fma_f16 v58, v94, v59, -v10
	v_mul_f16_e32 v10, 0xba95, v27
	v_fmamk_f16 v34, v30, 0x3b15, v32
	v_fma_f16 v62, v99, v60, -v31
	v_fma_f16 v31, v30, 0x3b15, -v32
	v_mul_f16_e32 v36, 0xbbf1, v27
	v_mul_f16_e32 v37, 0xbb7b, v27
	v_fmamk_f16 v42, v30, 0xb9fd, v40
	v_mul_f16_e32 v27, 0xb3a8, v27
	v_fma_f16 v40, v30, 0xb9fd, -v40
	v_add_f16_e32 v51, v78, v82
	v_mul_f16_e32 v53, 0xba95, v47
	v_fmac_f16_e32 v20, v85, v38
	v_mul_f16_e32 v18, v97, v19
	v_mul_f16_e32 v19, v89, v19
	v_fmac_f16_e32 v11, v61, v55
	v_fmamk_f16 v32, v30, 0x388b, v10
	v_add_f16_e32 v34, v23, v34
	v_fma_f16 v10, v30, 0x388b, -v10
	v_add_f16_e32 v31, v23, v31
	v_fmamk_f16 v38, v30, 0x2fb7, v36
	v_fma_f16 v36, v30, 0x2fb7, -v36
	v_fmamk_f16 v41, v30, 0xb5ac, v37
	v_fma_f16 v37, v30, 0xb5ac, -v37
	;; [unrolled: 2-line block ×3, first 2 shown]
	v_add_f16_e32 v30, v23, v40
	v_mul_f16_e32 v40, 0xbb7b, v47
	v_fmamk_f16 v55, v51, 0x388b, v53
	v_fma_f16 v53, v51, 0x388b, -v53
	v_fmac_f16_e32 v18, v89, v56
	v_fma_f16 v19, v97, v56, -v19
	v_add_f16_e32 v32, v23, v32
	v_add_f16_e32 v10, v23, v10
	v_fmamk_f16 v56, v51, 0xb5ac, v40
	v_add_f16_e32 v34, v55, v34
	v_fma_f16 v40, v51, 0xb5ac, -v40
	v_mul_f16_e32 v55, 0xb3a8, v47
	v_add_f16_e32 v31, v53, v31
	v_mul_f16_e32 v53, 0x394e, v47
	v_fmac_f16_e32 v24, v88, v57
	v_add_f16_e32 v38, v23, v38
	v_add_f16_e32 v37, v23, v37
	v_add_f16_e32 v32, v56, v32
	v_add_f16_e32 v10, v40, v10
	v_fmamk_f16 v40, v51, 0xbbc4, v55
	v_mul_f16_e32 v56, 0x3bf1, v47
	v_fmamk_f16 v57, v51, 0xb9fd, v53
	v_fma_f16 v53, v51, 0xb9fd, -v53
	v_add_f16_e32 v36, v23, v36
	v_add_f16_e32 v41, v23, v41
	;; [unrolled: 1-line block ×3, first 2 shown]
	v_fma_f16 v55, v51, 0xbbc4, -v55
	v_add_f16_e32 v38, v40, v38
	v_fmamk_f16 v40, v51, 0x2fb7, v56
	v_add_f16_e32 v37, v53, v37
	v_sub_f16_e32 v53, v73, v75
	v_mul_f16_e32 v47, 0x3770, v47
	v_add_f16_e32 v27, v23, v27
	v_add_f16_e32 v36, v55, v36
	;; [unrolled: 1-line block ×4, first 2 shown]
	v_fma_f16 v42, v51, 0x2fb7, -v56
	v_add_f16_e32 v55, v72, v74
	v_mul_f16_e32 v56, 0xbbf1, v53
	v_fmamk_f16 v57, v51, 0x3b15, v47
	v_fma_f16 v47, v51, 0x3b15, -v47
	v_add_f16_e32 v30, v42, v30
	v_mul_f16_e32 v42, 0xb3a8, v53
	v_fmamk_f16 v51, v55, 0x2fb7, v56
	v_add_f16_e32 v54, v23, v54
	v_add_f16_e32 v27, v47, v27
	v_fma_f16 v47, v55, 0x2fb7, -v56
	v_fmamk_f16 v56, v55, 0xbbc4, v42
	v_add_f16_e32 v34, v51, v34
	v_fma_f16 v42, v55, 0xbbc4, -v42
	v_mul_f16_e32 v51, 0x3b7b, v53
	v_add_f16_e32 v31, v47, v31
	v_mul_f16_e32 v47, 0x3770, v53
	v_add_f16_e32 v54, v57, v54
	v_add_f16_e32 v32, v56, v32
	;; [unrolled: 1-line block ×3, first 2 shown]
	v_fmamk_f16 v42, v55, 0xb5ac, v51
	v_fma_f16 v51, v55, 0xb5ac, -v51
	v_mul_f16_e32 v56, 0xba95, v53
	v_fmamk_f16 v57, v55, 0x3b15, v47
	v_fma_f16 v47, v55, 0x3b15, -v47
	v_add_f16_e32 v38, v42, v38
	v_add_f16_e32 v36, v51, v36
	v_fmamk_f16 v42, v55, 0x388b, v56
	v_mul_f16_e32 v51, 0xb94e, v53
	v_add_f16_e32 v37, v47, v37
	v_sub_f16_e32 v47, v69, v71
	v_add_f16_e32 v41, v57, v41
	v_add_f16_e32 v40, v42, v40
	v_fma_f16 v42, v55, 0x388b, -v56
	v_add_f16_e32 v53, v68, v70
	v_mul_f16_e32 v56, 0xbb7b, v47
	v_fmamk_f16 v57, v55, 0xb9fd, v51
	v_fma_f16 v51, v55, 0xb9fd, -v51
	v_add_f16_e32 v30, v42, v30
	v_mul_f16_e32 v42, 0x394e, v47
	v_fmamk_f16 v55, v53, 0xb5ac, v56
	v_add_f16_e32 v54, v57, v54
	v_add_f16_e32 v27, v51, v27
	v_fma_f16 v51, v53, 0xb5ac, -v56
	v_fmamk_f16 v56, v53, 0xb9fd, v42
	v_add_f16_e32 v34, v55, v34
	v_fma_f16 v42, v53, 0xb9fd, -v42
	v_mul_f16_e32 v55, 0x3770, v47
	v_add_f16_e32 v31, v51, v31
	v_mul_f16_e32 v51, 0xbbf1, v47
	v_add_f16_e32 v32, v56, v32
	v_add_f16_e32 v10, v42, v10
	v_fmamk_f16 v42, v53, 0x3b15, v55
	v_mul_f16_e32 v56, 0x33a8, v47
	v_fmamk_f16 v57, v53, 0x2fb7, v51
	v_fma_f16 v51, v53, 0x2fb7, -v51
	v_fma_f16 v55, v53, 0x3b15, -v55
	v_add_f16_e32 v38, v42, v38
	v_fmamk_f16 v42, v53, 0xbbc4, v56
	v_mul_f16_e32 v47, 0x3a95, v47
	v_add_f16_e32 v37, v51, v37
	v_sub_f16_e32 v51, v65, v67
	v_add_f16_e32 v36, v55, v36
	v_add_f16_e32 v41, v57, v41
	;; [unrolled: 1-line block ×3, first 2 shown]
	v_fma_f16 v42, v53, 0xbbc4, -v56
	v_add_f16_e32 v55, v64, v66
	v_mul_f16_e32 v56, 0xb94e, v51
	v_fmamk_f16 v57, v53, 0x388b, v47
	v_fma_f16 v47, v53, 0x388b, -v47
	v_add_f16_e32 v30, v42, v30
	v_mul_f16_e32 v42, 0x3bf1, v51
	v_fmamk_f16 v53, v55, 0xb9fd, v56
	v_add_f16_e32 v54, v57, v54
	v_add_f16_e32 v27, v47, v27
	v_fma_f16 v47, v55, 0xb9fd, -v56
	v_fmamk_f16 v56, v55, 0x2fb7, v42
	v_add_f16_e32 v34, v53, v34
	v_fma_f16 v42, v55, 0x2fb7, -v42
	v_mul_f16_e32 v53, 0xba95, v51
	v_add_f16_e32 v31, v47, v31
	v_mul_f16_e32 v47, 0x33a8, v51
	v_add_f16_e32 v32, v56, v32
	v_add_f16_e32 v10, v42, v10
	v_fmamk_f16 v42, v55, 0x388b, v53
	v_mul_f16_e32 v56, 0x3770, v51
	v_fmamk_f16 v57, v55, 0xbbc4, v47
	v_fma_f16 v47, v55, 0xbbc4, -v47
	v_fma_f16 v53, v55, 0x388b, -v53
	v_add_f16_e32 v38, v42, v38
	v_fmamk_f16 v42, v55, 0x3b15, v56
	v_mul_f16_e32 v51, 0xbb7b, v51
	v_add_f16_e32 v37, v47, v37
	v_sub_f16_e32 v47, v50, v52
	v_add_f16_e32 v36, v53, v36
	v_add_f16_e32 v41, v57, v41
	;; [unrolled: 1-line block ×3, first 2 shown]
	v_fma_f16 v42, v55, 0x3b15, -v56
	v_add_f16_e32 v53, v45, v48
	v_mul_f16_e32 v56, 0xb3a8, v47
	v_fmamk_f16 v57, v55, 0xb5ac, v51
	v_fma_f16 v51, v55, 0xb5ac, -v51
	v_add_f16_e32 v30, v42, v30
	v_mul_f16_e32 v42, 0x3770, v47
	v_fmamk_f16 v55, v53, 0xbbc4, v56
	v_add_f16_e32 v54, v57, v54
	v_add_f16_e32 v27, v51, v27
	v_fma_f16 v51, v53, 0xbbc4, -v56
	v_fmamk_f16 v56, v53, 0x3b15, v42
	v_add_f16_e32 v34, v55, v34
	v_mul_f16_e32 v55, 0xb94e, v47
	v_fma_f16 v42, v53, 0x3b15, -v42
	v_add_f16_e32 v31, v51, v31
	v_mul_f16_e32 v51, 0x3a95, v47
	v_add_f16_e32 v32, v56, v32
	v_fmamk_f16 v56, v53, 0xb9fd, v55
	v_add_f16_e32 v42, v42, v10
	v_fma_f16 v10, v53, 0xb9fd, -v55
	v_mul_f16_e32 v55, 0xbb7b, v47
	v_fmamk_f16 v57, v53, 0x388b, v51
	v_fma_f16 v51, v53, 0x388b, -v51
	v_fmac_f16_e32 v63, v91, v60
	v_add_f16_e32 v36, v10, v36
	v_fmamk_f16 v10, v53, 0xb5ac, v55
	v_mul_f16_e32 v47, 0x3bf1, v47
	v_add_f16_e32 v37, v51, v37
	v_sub_f16_e32 v51, v46, v62
	v_fmac_f16_e32 v49, v86, v59
	v_add_f16_e32 v38, v56, v38
	v_add_f16_e32 v41, v57, v41
	;; [unrolled: 1-line block ×3, first 2 shown]
	v_fma_f16 v10, v53, 0xb5ac, -v55
	v_fmamk_f16 v55, v53, 0x2fb7, v47
	v_add_f16_e32 v56, v43, v63
	v_mul_f16_e32 v57, 0xbbf1, v51
	v_fma_f16 v47, v53, 0x2fb7, -v47
	v_sub_f16_e32 v61, v39, v58
	v_add_f16_e32 v30, v10, v30
	v_add_f16_e32 v53, v55, v54
	v_mul_f16_e32 v10, 0xbb7b, v51
	v_fmamk_f16 v54, v56, 0x2fb7, v57
	v_add_f16_e32 v27, v47, v27
	v_fma_f16 v47, v56, 0x2fb7, -v57
	v_mul_f16_e32 v55, 0xb94e, v51
	v_add_f16_e32 v85, v33, v49
	v_mul_f16_e32 v86, 0xb3a8, v61
	v_fmamk_f16 v57, v56, 0xb5ac, v10
	v_add_f16_e32 v54, v22, v54
	v_fma_f16 v10, v56, 0xb5ac, -v10
	v_add_f16_e32 v47, v22, v47
	v_fmamk_f16 v59, v56, 0xb9fd, v55
	v_mul_f16_e32 v60, 0xb3a8, v51
	v_mul_f16_e32 v87, 0x394e, v61
	v_fmamk_f16 v88, v85, 0xbbc4, v86
	v_fma_f16 v86, v85, 0xbbc4, -v86
	v_mul_f16_e32 v90, 0x3bf1, v61
	v_add_f16_e32 v10, v22, v10
	v_add_f16_e32 v59, v22, v59
	v_fmamk_f16 v84, v56, 0xbbc4, v60
	v_fmamk_f16 v89, v85, 0xb9fd, v87
	v_add_f16_e32 v54, v88, v54
	v_fma_f16 v87, v85, 0xb9fd, -v87
	v_add_f16_e32 v47, v86, v47
	v_fmamk_f16 v86, v85, 0x2fb7, v90
	v_mul_f16_e32 v88, 0x3770, v61
	v_add_f16_e32 v57, v22, v57
	v_fma_f16 v55, v56, 0xb9fd, -v55
	v_fma_f16 v60, v56, 0xbbc4, -v60
	v_add_f16_e32 v84, v22, v84
	v_add_f16_e32 v10, v87, v10
	v_sub_f16_e32 v87, v29, v44
	v_add_f16_e32 v59, v86, v59
	v_fmamk_f16 v86, v85, 0x3b15, v88
	v_add_f16_e32 v55, v22, v55
	v_add_f16_e32 v60, v22, v60
	;; [unrolled: 1-line block ×3, first 2 shown]
	v_fma_f16 v89, v85, 0x2fb7, -v90
	v_add_f16_e32 v90, v25, v35
	v_mul_f16_e32 v91, 0x3b7b, v87
	v_fma_f16 v88, v85, 0x3b15, -v88
	v_add_f16_e32 v84, v86, v84
	v_mul_f16_e32 v86, 0x3770, v87
	v_add_f16_e32 v55, v89, v55
	v_fmamk_f16 v89, v90, 0xb5ac, v91
	v_fma_f16 v91, v90, 0xb5ac, -v91
	v_add_f16_e32 v60, v88, v60
	v_mul_f16_e32 v88, 0xba95, v87
	v_fmamk_f16 v92, v90, 0x3b15, v86
	v_add_f16_e32 v54, v89, v54
	v_add_f16_e32 v47, v91, v47
	v_fma_f16 v86, v90, 0x3b15, -v86
	v_fmamk_f16 v89, v90, 0x388b, v88
	v_add_f16_e32 v57, v92, v57
	v_mul_f16_e32 v91, 0xb94e, v87
	v_sub_f16_e32 v92, v21, v28
	v_fma_f16 v88, v90, 0x388b, -v88
	v_add_f16_e32 v10, v86, v10
	v_add_f16_e32 v59, v89, v59
	v_fmamk_f16 v86, v90, 0xb9fd, v91
	v_add_f16_e32 v89, v20, v24
	v_mul_f16_e32 v93, 0x3770, v92
	v_fma_f16 v91, v90, 0xb9fd, -v91
	v_add_f16_e32 v55, v88, v55
	v_mul_f16_e32 v88, 0xbbf1, v92
	v_add_f16_e32 v84, v86, v84
	v_fmamk_f16 v86, v89, 0x3b15, v93
	v_add_f16_e32 v60, v91, v60
	v_fma_f16 v91, v89, 0x3b15, -v93
	v_fmamk_f16 v93, v89, 0x2fb7, v88
	v_mul_f16_e32 v94, 0x33a8, v92
	v_add_f16_e32 v54, v86, v54
	v_fma_f16 v86, v89, 0x2fb7, -v88
	v_add_f16_e32 v47, v91, v47
	v_add_f16_e32 v57, v93, v57
	v_fmamk_f16 v88, v89, 0xbbc4, v94
	v_mul_f16_e32 v91, 0x3a95, v92
	v_add_f16_e32 v10, v86, v10
	v_fma_f16 v86, v89, 0xbbc4, -v94
	v_sub_f16_e32 v93, v17, v19
	v_add_f16_e32 v59, v88, v59
	v_fmamk_f16 v88, v89, 0x388b, v91
	v_fma_f16 v91, v89, 0x388b, -v91
	v_add_f16_e32 v94, v16, v18
	v_mul_f16_e32 v95, 0xba95, v93
	v_add_f16_e32 v55, v86, v55
	v_mul_f16_e32 v86, 0x33a8, v93
	v_add_f16_e32 v23, v23, v80
	v_add_f16_e32 v84, v88, v84
	;; [unrolled: 1-line block ×3, first 2 shown]
	v_fmamk_f16 v88, v94, 0x388b, v95
	v_fma_f16 v91, v94, 0x388b, -v95
	v_fmamk_f16 v95, v94, 0xbbc4, v86
	v_fma_f16 v86, v94, 0xbbc4, -v86
	v_add_f16_e32 v23, v23, v78
	v_mul_f16_e32 v96, 0x3770, v93
	v_add_f16_e32 v47, v91, v47
	v_add_f16_e32 v54, v88, v54
	v_add_f16_e32 v91, v86, v10
	v_mul_f16_e32 v10, 0xbb7b, v93
	v_add_f16_e32 v23, v23, v72
	v_add_f16_e32 v57, v95, v57
	v_fmamk_f16 v88, v94, 0x3b15, v96
	v_add_f16_e32 v86, v22, v43
	v_fmamk_f16 v95, v94, 0xb5ac, v10
	v_fma_f16 v10, v94, 0xb5ac, -v10
	v_add_f16_e32 v23, v23, v68
	v_add_f16_e32 v59, v88, v59
	v_fma_f16 v88, v94, 0x3b15, -v96
	v_add_f16_e32 v86, v86, v33
	v_pk_mul_f16 v51, 0xb770ba95, v51 op_sel_hi:[1,0]
	v_add_f16_e32 v60, v10, v60
	v_add_f16_e32 v10, v23, v64
	;; [unrolled: 1-line block ×4, first 2 shown]
	v_pk_fma_f16 v88, 0x3b15388b, v56, v51 op_sel_hi:[1,0,1]
	v_pk_mul_f16 v61, 0xba95bb7b, v61 op_sel_hi:[1,0]
	v_add_f16_e32 v10, v10, v45
	v_add_f16_e32 v84, v95, v84
	;; [unrolled: 1-line block ×3, first 2 shown]
	v_lshrrev_b32_e32 v95, 16, v88
	v_pk_fma_f16 v96, 0x388bb5ac, v85, v61 op_sel_hi:[1,0,1]
	v_pk_fma_f16 v51, 0x3b15388b, v56, v51 op_sel_hi:[1,0,1] neg_lo:[0,0,1] neg_hi:[0,0,1]
	v_pk_mul_f16 v87, 0xbbf1b3a8, v87 op_sel_hi:[1,0]
	v_add_f16_e32 v10, v10, v48
	v_add_f16_e32 v23, v86, v16
	;; [unrolled: 1-line block ×3, first 2 shown]
	v_lshrrev_b32_e32 v95, 16, v96
	v_add_f16_e32 v56, v22, v88
	v_pk_add_f16 v22, v22, v51 op_sel_hi:[0,1]
	v_pk_fma_f16 v51, 0x2fb7bbc4, v90, v87 op_sel_hi:[1,0,1]
	v_add_f16_e32 v10, v10, v66
	v_pk_fma_f16 v61, 0x388bb5ac, v85, v61 op_sel_hi:[1,0,1] neg_lo:[0,0,1] neg_hi:[0,0,1]
	v_pk_mul_f16 v85, 0xbb7b394e, v92 op_sel_hi:[1,0]
	v_add_f16_e32 v86, v95, v86
	v_add_f16_e32 v56, v96, v56
	v_lshrrev_b32_e32 v88, 16, v51
	v_add_f16_e32 v10, v10, v70
	v_pk_add_f16 v22, v61, v22
	v_pk_fma_f16 v61, 0xb5acb9fd, v89, v85 op_sel_hi:[1,0,1]
	v_pk_fma_f16 v87, 0x2fb7bbc4, v90, v87 op_sel_hi:[1,0,1] neg_lo:[0,0,1] neg_hi:[0,0,1]
	v_add_f16_e32 v86, v88, v86
	v_add_f16_e32 v10, v10, v74
	v_pk_mul_f16 v90, 0xb94e3bf1, v93 op_sel_hi:[1,0]
	v_lshrrev_b32_e32 v88, 16, v61
	v_add_f16_e32 v51, v51, v56
	v_sub_f16_e32 v56, v12, v15
	v_pk_add_f16 v22, v87, v22
	v_pk_fma_f16 v87, 0xb9fd2fb7, v94, v90 op_sel_hi:[1,0,1]
	v_add_f16_e32 v86, v88, v86
	v_add_f16_e32 v88, v5, v11
	;; [unrolled: 1-line block ×3, first 2 shown]
	v_pk_fma_f16 v61, 0xb5acb9fd, v89, v85 op_sel_hi:[1,0,1] neg_lo:[0,0,1] neg_hi:[0,0,1]
	v_pk_mul_f16 v85, 0xb3a83770, v56 op_sel_hi:[1,0]
	v_add_f16_e32 v10, v10, v82
	v_add_f16_e32 v23, v23, v5
	v_lshrrev_b32_e32 v89, 16, v87
	v_pk_add_f16 v22, v61, v22
	v_pk_fma_f16 v61, 0xbbc43b15, v88, v85 op_sel_hi:[1,0,1]
	v_add_f16_e32 v92, v10, v83
	v_pk_fma_f16 v10, 0xb9fd2fb7, v94, v90 op_sel_hi:[1,0,1] neg_lo:[0,0,1] neg_hi:[0,0,1]
	v_add_f16_e32 v23, v23, v11
	v_add_f16_e32 v89, v89, v86
	ds_load_u16 v86, v8
	v_lshrrev_b32_e32 v90, 16, v61
	v_add_f16_e32 v51, v87, v51
	v_mul_f16_e32 v87, 0xb94e, v56
	v_pk_add_f16 v10, v10, v22
	v_pk_fma_f16 v85, 0xbbc43b15, v88, v85 op_sel_hi:[1,0,1] neg_lo:[0,0,1] neg_hi:[0,0,1]
	v_add_f16_e32 v23, v23, v18
	v_add_f16_e32 v22, v90, v89
	;; [unrolled: 1-line block ×3, first 2 shown]
	v_fmamk_f16 v61, v88, 0xb9fd, v87
	v_fma_f16 v87, v88, 0xb9fd, -v87
	v_mul_f16_e32 v89, 0x3a95, v56
	v_pk_add_f16 v10, v85, v10
	v_mul_f16_e32 v85, 0xbb7b, v56
	v_add_f16_e32 v23, v23, v24
	v_add_f16_e32 v54, v61, v54
	;; [unrolled: 1-line block ×3, first 2 shown]
	v_fmamk_f16 v61, v88, 0x388b, v89
	v_fma_f16 v87, v88, 0x388b, -v89
	v_fmamk_f16 v89, v88, 0xb5ac, v85
	v_fma_f16 v85, v88, 0xb5ac, -v85
	v_mul_f16_e32 v56, 0x3bf1, v56
	v_add_f16_e32 v23, v23, v35
	v_add_f16_e32 v57, v61, v57
	;; [unrolled: 1-line block ×4, first 2 shown]
	v_fmamk_f16 v85, v88, 0x2fb7, v56
	v_cndmask_b32_e64 v87, 0, 0x2a4, s1
	v_add_f16_e32 v23, v23, v49
	v_fma_f16 v56, v88, 0x2fb7, -v56
	v_add_f16_e32 v59, v89, v59
	v_add_f16_e32 v88, v85, v84
	v_add3_u32 v85, 0, v87, v13
	v_mul_u32_u24_e32 v13, 0x2a4, v26
	v_add_f16_e32 v23, v23, v63
	v_add_f16_e32 v56, v56, v60
	s_waitcnt lgkmcnt(0)
	s_barrier
	buffer_gl0_inv
	ds_store_b16 v85, v92
	ds_store_b16 v85, v34 offset:52
	ds_store_b16 v85, v32 offset:104
	;; [unrolled: 1-line block ×7, first 2 shown]
	v_add3_u32 v84, 0, v13, v14
	ds_store_b16 v85, v30 offset:416
	ds_store_b16 v85, v37 offset:468
	;; [unrolled: 1-line block ×5, first 2 shown]
	ds_store_b16 v84, v23
	ds_store_b16 v84, v22 offset:52
	ds_store_b16 v84, v51 offset:104
	;; [unrolled: 1-line block ×11, first 2 shown]
	ds_store_b16_d16_hi v84, v10 offset:624
	s_waitcnt lgkmcnt(0)
	s_barrier
	buffer_gl0_inv
	ds_load_u16 v42, v8 offset:1560
	ds_load_u16 v53, v8 offset:1664
	ds_load_u16 v22, v8
	ds_load_u16 v23, v8 offset:104
	ds_load_u16 v27, v8 offset:208
	;; [unrolled: 1-line block ×21, first 2 shown]
                                        ; implicit-def: $vgpr13
                                        ; implicit-def: $vgpr14
	s_and_saveexec_b32 s1, s0
	s_cbranch_execz .LBB0_13
; %bb.12:
	ds_load_u16 v10, v8 offset:624
	ds_load_u16 v13, v8 offset:1976
	s_waitcnt lgkmcnt(1)
	ds_load_u16_d16_hi v10, v8 offset:1300
	ds_load_u16 v14, v8 offset:2652
.LBB0_13:
	s_or_b32 exec_lo, exec_lo, s1
	v_add_f16_e32 v87, v86, v81
	v_sub_f16_e32 v80, v80, v83
	v_add_f16_e32 v83, v79, v77
	v_add_f16_e32 v81, v81, v76
	v_sub_f16_e32 v78, v78, v82
	v_add_f16_e32 v79, v87, v79
	v_sub_f16_e32 v72, v72, v74
	v_mul_f16_e32 v91, 0x388b, v83
	v_mul_f16_e32 v82, 0x3b15, v81
	;; [unrolled: 1-line block ×3, first 2 shown]
	v_add_f16_e32 v79, v79, v73
	v_mul_f16_e32 v88, 0x2fb7, v81
	v_mul_f16_e32 v89, 0xb5ac, v81
	;; [unrolled: 1-line block ×4, first 2 shown]
	v_add_f16_e32 v79, v79, v69
	v_mul_f16_e32 v92, 0xb5ac, v83
	v_fmamk_f16 v94, v80, 0x3770, v82
	v_fmac_f16_e32 v82, 0xb770, v80
	v_fmamk_f16 v95, v80, 0x3a95, v87
	v_add_f16_e32 v79, v79, v65
	v_fmac_f16_e32 v87, 0xba95, v80
	v_mul_f16_e32 v93, 0xbbc4, v83
	v_fmamk_f16 v96, v80, 0x3bf1, v88
	v_fmac_f16_e32 v88, 0xbbf1, v80
	v_add_f16_e32 v79, v79, v50
	v_fmamk_f16 v97, v80, 0x3b7b, v89
	v_fmac_f16_e32 v89, 0xbb7b, v80
	v_fmamk_f16 v98, v80, 0x394e, v90
	v_fmac_f16_e32 v90, 0xb94e, v80
	v_add_f16_e32 v79, v79, v52
	v_fmamk_f16 v99, v80, 0x33a8, v81
	v_fmac_f16_e32 v81, 0xb3a8, v80
	;; [unrolled: 5-line block ×3, first 2 shown]
	v_add_f16_e32 v82, v86, v82
	v_add_f16_e32 v87, v86, v87
	;; [unrolled: 1-line block ×18, first 2 shown]
	v_mul_f16_e32 v77, 0xb9fd, v83
	v_fmamk_f16 v87, v78, 0x33a8, v93
	v_fmac_f16_e32 v93, 0xb3a8, v78
	v_mul_f16_e32 v91, 0x2fb7, v83
	v_add_f16_e32 v73, v73, v75
	v_fmamk_f16 v92, v78, 0xb94e, v77
	v_fmac_f16_e32 v77, 0x394e, v78
	v_add_f16_e32 v88, v93, v88
	v_fmamk_f16 v93, v78, 0xbbf1, v91
	v_mul_f16_e32 v75, 0x3b15, v83
	v_fmac_f16_e32 v91, 0x3bf1, v78
	v_mul_f16_e32 v74, 0x2fb7, v73
	v_add_f16_e32 v80, v80, v94
	v_add_f16_e32 v77, v77, v89
	v_fmamk_f16 v89, v78, 0xb770, v75
	v_fmac_f16_e32 v75, 0x3770, v78
	v_add_f16_e32 v78, v91, v90
	v_mul_f16_e32 v90, 0xbbc4, v73
	v_fmamk_f16 v91, v72, 0x3bf1, v74
	v_add_f16_e32 v82, v100, v95
	v_add_f16_e32 v75, v75, v79
	v_fmac_f16_e32 v74, 0xbbf1, v72
	v_fmamk_f16 v79, v72, 0x33a8, v90
	v_add_f16_e32 v80, v91, v80
	v_fmac_f16_e32 v90, 0xb3a8, v72
	v_mul_f16_e32 v91, 0xb5ac, v73
	v_add_f16_e32 v87, v87, v96
	v_add_f16_e32 v74, v74, v81
	v_add_f16_e32 v79, v79, v82
	v_mul_f16_e32 v81, 0x3b15, v73
	v_add_f16_e32 v82, v90, v86
	v_fmamk_f16 v86, v72, 0xbb7b, v91
	v_fmac_f16_e32 v91, 0x3b7b, v72
	v_mul_f16_e32 v90, 0x388b, v73
	v_add_f16_e32 v69, v69, v71
	v_add_f16_e32 v83, v93, v98
	v_fmamk_f16 v93, v72, 0xb770, v81
	v_fmac_f16_e32 v81, 0x3770, v72
	v_add_f16_e32 v86, v86, v87
	v_add_f16_e32 v87, v91, v88
	v_fmamk_f16 v88, v72, 0x3a95, v90
	v_mul_f16_e32 v71, 0xb9fd, v73
	v_fmac_f16_e32 v90, 0xba95, v72
	v_sub_f16_e32 v68, v68, v70
	v_mul_f16_e32 v70, 0xb5ac, v69
	v_add_f16_e32 v77, v81, v77
	v_add_f16_e32 v73, v88, v83
	v_fmamk_f16 v81, v72, 0x394e, v71
	v_fmac_f16_e32 v71, 0xb94e, v72
	v_add_f16_e32 v72, v90, v78
	v_mul_f16_e32 v78, 0xb9fd, v69
	v_fmamk_f16 v83, v68, 0x3b7b, v70
	v_fmac_f16_e32 v70, 0xbb7b, v68
	v_add_f16_e32 v71, v71, v75
	v_add_f16_e32 v65, v65, v67
	v_fmamk_f16 v75, v68, 0xb94e, v78
	v_add_f16_e32 v80, v83, v80
	v_fmac_f16_e32 v78, 0x394e, v68
	v_mul_f16_e32 v83, 0x3b15, v69
	v_add_f16_e32 v70, v70, v74
	v_add_f16_e32 v74, v75, v79
	v_mul_f16_e32 v75, 0x2fb7, v69
	v_add_f16_e32 v78, v78, v82
	v_fmamk_f16 v79, v68, 0xb770, v83
	v_mul_f16_e32 v82, 0xbbc4, v69
	v_mul_f16_e32 v67, 0x388b, v69
	v_fmac_f16_e32 v83, 0x3770, v68
	v_fmamk_f16 v88, v68, 0x3bf1, v75
	v_add_f16_e32 v79, v79, v86
	v_fmamk_f16 v86, v68, 0xb3a8, v82
	v_fmac_f16_e32 v82, 0x33a8, v68
	v_fmac_f16_e32 v75, 0xbbf1, v68
	v_sub_f16_e32 v64, v64, v66
	v_mul_f16_e32 v66, 0xb9fd, v65
	v_add_f16_e32 v69, v86, v73
	v_fmamk_f16 v73, v68, 0xba95, v67
	v_fmac_f16_e32 v67, 0x3a95, v68
	v_add_f16_e32 v68, v82, v72
	v_mul_f16_e32 v72, 0x2fb7, v65
	v_add_f16_e32 v89, v89, v99
	v_add_f16_e32 v75, v75, v77
	v_fmamk_f16 v77, v64, 0x394e, v66
	v_add_f16_e32 v67, v67, v71
	v_fmac_f16_e32 v66, 0xb94e, v64
	v_fmamk_f16 v71, v64, 0xbbf1, v72
	v_add_f16_e32 v81, v81, v89
	v_add_f16_e32 v77, v77, v80
	v_fmac_f16_e32 v72, 0x3bf1, v64
	v_add_f16_e32 v66, v66, v70
	v_add_f16_e32 v70, v71, v74
	v_mul_f16_e32 v71, 0xbbc4, v65
	v_add_f16_e32 v73, v73, v81
	v_mul_f16_e32 v80, 0x388b, v65
	v_add_f16_e32 v83, v83, v87
	v_add_f16_e32 v72, v72, v78
	v_fmamk_f16 v81, v64, 0xb3a8, v71
	v_fmac_f16_e32 v71, 0x33a8, v64
	v_fmamk_f16 v74, v64, 0x3a95, v80
	v_fmac_f16_e32 v80, 0xba95, v64
	v_mul_f16_e32 v78, 0x3b15, v65
	v_mul_f16_e32 v65, 0xb5ac, v65
	v_add_f16_e32 v71, v71, v75
	v_add_f16_e32 v75, v4, v46
	;; [unrolled: 1-line block ×4, first 2 shown]
	v_fmamk_f16 v80, v64, 0xb770, v78
	v_add_f16_e32 v50, v50, v52
	v_add_f16_e32 v75, v75, v39
	v_fmac_f16_e32 v78, 0x3770, v64
	v_fmamk_f16 v52, v64, 0x3b7b, v65
	v_fmac_f16_e32 v65, 0xbb7b, v64
	v_sub_f16_e32 v45, v45, v48
	v_add_f16_e32 v64, v75, v29
	v_mul_f16_e32 v48, 0xbbc4, v50
	v_add_f16_e32 v52, v52, v73
	v_mul_f16_e32 v75, 0x3b15, v50
	v_add_f16_e32 v65, v65, v67
	v_add_f16_e32 v64, v64, v21
	v_fmamk_f16 v73, v45, 0x33a8, v48
	v_fmac_f16_e32 v48, 0xb3a8, v45
	v_add_f16_e32 v92, v92, v97
	v_add_f16_e32 v46, v46, v62
	;; [unrolled: 1-line block ×4, first 2 shown]
	v_fmamk_f16 v73, v45, 0xb770, v75
	v_mul_f16_e32 v77, 0xb9fd, v50
	v_add_f16_e32 v48, v48, v66
	v_add_f16_e32 v64, v64, v12
	v_fmac_f16_e32 v75, 0x3770, v45
	v_add_f16_e32 v66, v73, v70
	v_fmamk_f16 v70, v45, 0x394e, v77
	v_mul_f16_e32 v73, 0x388b, v50
	v_add_f16_e32 v64, v64, v15
	v_add_f16_e32 v91, v93, v92
	;; [unrolled: 1-line block ×4, first 2 shown]
	v_fmamk_f16 v74, v45, 0xba95, v73
	v_add_f16_e32 v64, v64, v19
	v_mul_f16_e32 v75, 0xb5ac, v50
	v_fmac_f16_e32 v73, 0x3a95, v45
	v_mul_f16_e32 v50, 0x2fb7, v50
	v_add_f16_e32 v87, v88, v91
	v_add_f16_e32 v64, v64, v28
	;; [unrolled: 1-line block ×3, first 2 shown]
	v_fmac_f16_e32 v77, 0xb94e, v45
	v_fmamk_f16 v78, v45, 0x3b7b, v75
	v_fmac_f16_e32 v75, 0xbb7b, v45
	v_add_f16_e32 v64, v64, v44
	v_add_f16_e32 v71, v73, v71
	v_fmamk_f16 v73, v45, 0xbbf1, v50
	v_fmac_f16_e32 v50, 0x3bf1, v45
	v_sub_f16_e32 v43, v43, v63
	v_mul_f16_e32 v45, 0x2fb7, v46
	v_add_f16_e32 v63, v64, v58
	v_add_f16_e32 v39, v39, v58
	;; [unrolled: 1-line block ×5, first 2 shown]
	v_fmamk_f16 v65, v43, 0x3bf1, v45
	v_add_f16_e32 v62, v63, v62
	v_fmac_f16_e32 v45, 0xbbf1, v43
	v_mul_f16_e32 v63, 0xb9fd, v46
	v_sub_f16_e32 v33, v33, v49
	v_mul_f16_e32 v49, 0xbbc4, v39
	v_add_f16_e32 v74, v74, v81
	v_add_f16_e32 v69, v78, v69
	;; [unrolled: 1-line block ×3, first 2 shown]
	v_mul_f16_e32 v64, 0xb5ac, v46
	v_add_f16_e32 v65, v4, v65
	v_add_f16_e32 v45, v4, v45
	v_fmamk_f16 v75, v43, 0x394e, v63
	v_mul_f16_e32 v78, 0xbbc4, v46
	v_fmac_f16_e32 v63, 0xb94e, v43
	v_fmamk_f16 v80, v33, 0x33a8, v49
	v_fmac_f16_e32 v49, 0xb3a8, v33
	v_mul_f16_e32 v81, 0x2fb7, v39
	v_add_f16_e32 v77, v77, v79
	v_add_f16_e32 v52, v73, v52
	v_fmamk_f16 v73, v43, 0x3b7b, v64
	v_add_f16_e32 v58, v4, v75
	v_fmamk_f16 v75, v43, 0x33a8, v78
	v_fmac_f16_e32 v78, 0xb3a8, v43
	v_add_f16_e32 v63, v4, v63
	v_mul_f16_e32 v79, 0xb9fd, v39
	v_add_f16_e32 v65, v80, v65
	v_add_f16_e32 v45, v49, v45
	v_fmamk_f16 v49, v33, 0xbbf1, v81
	v_mul_f16_e32 v80, 0x3b15, v39
	v_add_f16_e32 v29, v29, v44
	v_fmac_f16_e32 v81, 0x3bf1, v33
	v_fmac_f16_e32 v64, 0xbb7b, v43
	v_add_f16_e32 v73, v4, v73
	v_add_f16_e32 v75, v4, v75
	;; [unrolled: 1-line block ×3, first 2 shown]
	v_fmamk_f16 v82, v33, 0xb94e, v79
	v_add_f16_e32 v44, v49, v58
	v_fmamk_f16 v49, v33, 0xb770, v80
	v_sub_f16_e32 v25, v25, v35
	v_mul_f16_e32 v35, 0xb5ac, v29
	v_fmac_f16_e32 v80, 0x3770, v33
	v_add_f16_e32 v58, v81, v63
	v_mul_f16_e32 v63, 0x3b15, v29
	v_add_f16_e32 v64, v4, v64
	v_fmac_f16_e32 v79, 0x394e, v33
	v_add_f16_e32 v73, v82, v73
	v_add_f16_e32 v49, v49, v75
	v_fmamk_f16 v75, v25, 0xbb7b, v35
	v_add_f16_e32 v78, v80, v78
	v_fmac_f16_e32 v35, 0x3b7b, v25
	v_fmamk_f16 v80, v25, 0xb770, v63
	v_add_f16_e32 v64, v79, v64
	v_mul_f16_e32 v79, 0x388b, v29
	v_fmac_f16_e32 v63, 0x3770, v25
	v_add_f16_e32 v35, v35, v45
	v_add_f16_e32 v45, v80, v73
	v_mul_f16_e32 v73, 0xb9fd, v29
	v_add_f16_e32 v21, v21, v28
	v_add_f16_e32 v65, v75, v65
	v_fmamk_f16 v75, v25, 0x3a95, v79
	v_add_f16_e32 v63, v63, v64
	v_fmamk_f16 v28, v25, 0x394e, v73
	v_fmac_f16_e32 v73, 0xb94e, v25
	v_sub_f16_e32 v20, v20, v24
	v_mul_f16_e32 v24, 0x3b15, v21
	v_mul_f16_e32 v64, 0x2fb7, v21
	v_add_f16_e32 v44, v75, v44
	v_add_f16_e32 v28, v28, v49
	;; [unrolled: 1-line block ×3, first 2 shown]
	v_fmamk_f16 v73, v20, 0xb770, v24
	v_fmac_f16_e32 v24, 0x3770, v20
	v_fmamk_f16 v75, v20, 0x3bf1, v64
	v_mul_f16_e32 v78, 0xbbc4, v21
	v_add_f16_e32 v17, v17, v19
	v_fmac_f16_e32 v64, 0xbbf1, v20
	v_add_f16_e32 v24, v24, v35
	v_add_f16_e32 v35, v75, v45
	v_fmamk_f16 v45, v20, 0xb3a8, v78
	v_mul_f16_e32 v19, 0x388b, v21
	v_sub_f16_e32 v16, v16, v18
	v_mul_f16_e32 v18, 0x388b, v17
	v_add_f16_e32 v65, v73, v65
	v_add_f16_e32 v63, v64, v63
	;; [unrolled: 1-line block ×3, first 2 shown]
	v_fmamk_f16 v45, v20, 0xba95, v19
	v_mul_f16_e32 v64, 0xbbc4, v17
	v_fmac_f16_e32 v19, 0x3a95, v20
	v_fmamk_f16 v73, v16, 0x3a95, v18
	v_fmac_f16_e32 v18, 0xba95, v16
	v_add_f16_e32 v28, v45, v28
	v_fmamk_f16 v45, v16, 0xb3a8, v64
	v_add_f16_e32 v19, v19, v49
	v_add_f16_e32 v49, v73, v65
	v_mul_f16_e32 v65, 0x3b15, v17
	v_add_f16_e32 v18, v18, v24
	v_add_f16_e32 v24, v45, v35
	v_pk_mul_f16 v46, 0x3b15388b, v46 op_sel_hi:[1,0]
	v_pk_mul_f16 v39, 0x388bb5ac, v39 op_sel_hi:[1,0]
	v_fmamk_f16 v45, v16, 0xb770, v65
	v_add_f16_e32 v12, v12, v15
	v_sub_f16_e32 v5, v5, v11
	v_pk_mul_f16 v29, 0x2fb7bbc4, v29 op_sel_hi:[1,0]
	v_pk_fma_f16 v11, 0xba95bb7b, v33, v39 op_sel_hi:[1,0,1] neg_lo:[0,1,0] neg_hi:[0,1,0]
	v_add_f16_e32 v44, v45, v44
	v_pk_fma_f16 v45, 0xb770ba95, v43, v46 op_sel_hi:[1,0,1] neg_lo:[0,1,0] neg_hi:[0,1,0]
	v_pk_fma_f16 v43, 0xb770ba95, v43, v46 op_sel_hi:[1,0,1]
	v_pk_mul_f16 v21, 0xb5acb9fd, v21 op_sel_hi:[1,0]
	v_lshrrev_b32_e32 v46, 16, v11
	v_pk_fma_f16 v33, 0xba95bb7b, v33, v39 op_sel_hi:[1,0,1]
	v_lshrrev_b32_e32 v15, 16, v45
	v_add_f16_e32 v45, v4, v45
	v_fmac_f16_e32 v79, 0xba95, v25
	v_mul_f16_e32 v35, 0xb5ac, v17
	v_pk_mul_f16 v17, 0xb9fd2fb7, v17 op_sel_hi:[1,0]
	v_add_f16_e32 v15, v4, v15
	v_pk_add_f16 v4, v4, v43 op_sel_hi:[0,1]
	v_pk_fma_f16 v43, 0xbbf1b3a8, v25, v29 op_sel_hi:[1,0,1] neg_lo:[0,1,0] neg_hi:[0,1,0]
	v_add_f16_e32 v11, v11, v45
	v_pk_fma_f16 v45, 0xbb7b394e, v20, v21 op_sel_hi:[1,0,1] neg_lo:[0,1,0] neg_hi:[0,1,0]
	v_add_f16_e32 v15, v46, v15
	v_pk_add_f16 v4, v33, v4
	v_lshrrev_b32_e32 v39, 16, v43
	v_pk_fma_f16 v25, 0xbbf1b3a8, v25, v29 op_sel_hi:[1,0,1]
	v_lshrrev_b32_e32 v29, 16, v45
	v_pk_fma_f16 v33, 0xb94e3bf1, v16, v17 op_sel_hi:[1,0,1] neg_lo:[0,1,0] neg_hi:[0,1,0]
	v_fmac_f16_e32 v78, 0x33a8, v20
	v_add_f16_e32 v15, v39, v15
	v_pk_add_f16 v4, v25, v4
	v_pk_mul_f16 v25, 0xbbc43b15, v12 op_sel_hi:[1,0]
	v_fmac_f16_e32 v64, 0x33a8, v16
	v_add_f16_e32 v11, v43, v11
	v_pk_fma_f16 v20, 0xbb7b394e, v20, v21 op_sel_hi:[1,0,1]
	v_add_f16_e32 v15, v29, v15
	v_lshrrev_b32_e32 v21, 16, v33
	v_pk_fma_f16 v29, 0xb3a83770, v5, v25 op_sel_hi:[1,0,1] neg_lo:[0,1,0] neg_hi:[0,1,0]
	v_fmac_f16_e32 v65, 0x3770, v16
	v_add_f16_e32 v63, v64, v63
	v_fmamk_f16 v64, v16, 0x3b7b, v35
	v_fmac_f16_e32 v35, 0xbb7b, v16
	v_add_f16_e32 v11, v45, v11
	v_pk_add_f16 v4, v20, v4
	v_pk_fma_f16 v16, 0xb94e3bf1, v16, v17 op_sel_hi:[1,0,1]
	v_mul_f16_e32 v20, 0xb9fd, v12
	v_add_f16_e32 v15, v21, v15
	v_lshrrev_b32_e32 v17, 16, v29
	v_add_f16_e32 v58, v79, v58
	v_add_f16_e32 v11, v33, v11
	v_pk_add_f16 v4, v16, v4
	v_pk_fma_f16 v16, 0xb3a83770, v5, v25 op_sel_hi:[1,0,1]
	v_fmamk_f16 v21, v5, 0x394e, v20
	v_add_f16_e32 v15, v17, v15
	v_mul_f16_e32 v17, 0x388b, v12
	v_add_f16_e32 v58, v78, v58
	v_add_f16_e32 v25, v29, v11
	v_fmac_f16_e32 v20, 0xb94e, v5
	v_pk_add_f16 v11, v16, v4
	v_add_f16_e32 v16, v21, v49
	v_mul_f16_e32 v21, 0xb5ac, v12
	v_fmamk_f16 v4, v5, 0xba95, v17
	v_mul_f16_e32 v12, 0x2fb7, v12
	v_add_f16_e32 v58, v65, v58
	v_add_f16_e32 v18, v20, v18
	v_fmac_f16_e32 v17, 0x3a95, v5
	v_fmamk_f16 v20, v5, 0x3b7b, v21
	v_fmac_f16_e32 v21, 0xbb7b, v5
	v_add_f16_e32 v19, v35, v19
	v_add_f16_e32 v4, v4, v24
	v_fmamk_f16 v24, v5, 0xbbf1, v12
	v_fmac_f16_e32 v12, 0x3bf1, v5
	v_add_f16_e32 v28, v64, v28
	v_add_f16_e32 v5, v17, v63
	;; [unrolled: 1-line block ×6, first 2 shown]
	s_waitcnt lgkmcnt(0)
	s_barrier
	buffer_gl0_inv
	ds_store_b16 v85, v76
	ds_store_b16 v85, v67 offset:52
	ds_store_b16 v85, v66 offset:104
	ds_store_b16 v85, v70 offset:156
	ds_store_b16 v85, v74 offset:208
	ds_store_b16 v85, v69 offset:260
	ds_store_b16 v85, v52 offset:312
	ds_store_b16 v85, v50 offset:364
	ds_store_b16 v85, v68 offset:416
	ds_store_b16 v85, v71 offset:468
	ds_store_b16 v85, v77 offset:520
	ds_store_b16 v85, v72 offset:572
	ds_store_b16 v85, v48 offset:624
	ds_store_b16 v84, v62
	ds_store_b16 v84, v15 offset:52
	ds_store_b16 v84, v25 offset:104
	;; [unrolled: 1-line block ×7, first 2 shown]
	v_lshrrev_b32_e32 v12, 16, v11
	ds_store_b16 v84, v20 offset:416
	ds_store_b16 v84, v5 offset:468
	;; [unrolled: 1-line block ×5, first 2 shown]
	s_waitcnt lgkmcnt(0)
	s_barrier
	buffer_gl0_inv
	ds_load_u16 v21, v8 offset:780
	ds_load_u16 v20, v8 offset:1456
	;; [unrolled: 1-line block ×4, first 2 shown]
	ds_load_u16 v17, v8
	ds_load_u16 v18, v8 offset:104
	ds_load_u16 v19, v8 offset:208
	;; [unrolled: 1-line block ×19, first 2 shown]
                                        ; implicit-def: $vgpr15
                                        ; implicit-def: $vgpr16
	s_and_saveexec_b32 s1, s0
	s_cbranch_execz .LBB0_15
; %bb.14:
	ds_load_u16 v11, v8 offset:624
	ds_load_u16 v12, v8 offset:1300
	;; [unrolled: 1-line block ×4, first 2 shown]
	v_mov_b32_e32 v9, v7
.LBB0_15:
	s_or_b32 exec_lo, exec_lo, s1
	s_and_saveexec_b32 s1, vcc_lo
	s_cbranch_execz .LBB0_18
; %bb.16:
	v_mul_u32_u24_e32 v7, 3, v6
	v_mad_u32_u24 v4, v6, 3, 0xffffff64
	v_mov_b32_e32 v5, 0
	s_delay_alu instid0(VALU_DEP_3) | instskip(NEXT) | instid1(VALU_DEP_2)
	v_lshlrev_b32_e32 v65, 2, v7
	v_lshlrev_b64 v[7:8], 2, v[4:5]
	v_mad_u32_u24 v4, v6, 3, 0xfffffec8
	global_load_b96 v[65:67], v65, s[4:5] offset:1344
	v_add_co_u32 v7, vcc_lo, s4, v7
	v_add_co_ci_u32_e32 v8, vcc_lo, s5, v8, vcc_lo
	global_load_b96 v[68:70], v[7:8], off offset:1344
	v_lshlrev_b64 v[7:8], 2, v[4:5]
	v_mad_u32_u24 v4, v6, 3, 0xfffffe2c
	s_delay_alu instid0(VALU_DEP_2) | instskip(NEXT) | instid1(VALU_DEP_3)
	v_add_co_u32 v7, vcc_lo, s4, v7
	v_add_co_ci_u32_e32 v8, vcc_lo, s5, v8, vcc_lo
	global_load_b96 v[71:73], v[7:8], off offset:1344
	v_lshlrev_b64 v[7:8], 2, v[4:5]
	v_mad_u32_u24 v4, v6, 3, 0xfffffd90
	v_mul_hi_u32 v6, 0x60f25deb, v6
	s_delay_alu instid0(VALU_DEP_3) | instskip(NEXT) | instid1(VALU_DEP_4)
	v_add_co_u32 v7, vcc_lo, s4, v7
	v_add_co_ci_u32_e32 v8, vcc_lo, s5, v8, vcc_lo
	global_load_b96 v[74:76], v[7:8], off offset:1344
	v_lshlrev_b64 v[7:8], 2, v[4:5]
	v_mul_u32_u24_e32 v4, 3, v0
	s_delay_alu instid0(VALU_DEP_2) | instskip(NEXT) | instid1(VALU_DEP_3)
	v_add_co_u32 v7, vcc_lo, s4, v7
	v_add_co_ci_u32_e32 v8, vcc_lo, s5, v8, vcc_lo
	s_delay_alu instid0(VALU_DEP_3)
	v_lshlrev_b32_e32 v4, 2, v4
	s_clause 0x1
	global_load_b96 v[77:79], v[7:8], off offset:1344
	global_load_b96 v[80:82], v4, s[4:5] offset:1344
	v_mul_hi_u32 v4, 0x60f25deb, v1
	v_lshrrev_b32_e32 v8, 7, v6
	v_mov_b32_e32 v1, v5
	v_add_co_u32 v2, vcc_lo, s8, v2
	v_add_co_ci_u32_e32 v3, vcc_lo, s9, v3, vcc_lo
	s_delay_alu instid0(VALU_DEP_3) | instskip(SKIP_1) | instid1(VALU_DEP_1)
	v_lshlrev_b64 v[0:1], 2, v[0:1]
	v_lshrrev_b32_e32 v4, 7, v4
	v_mul_u32_u24_e32 v4, 0x3f6, v4
	s_delay_alu instid0(VALU_DEP_3) | instskip(NEXT) | instid1(VALU_DEP_4)
	v_add_co_u32 v0, vcc_lo, v2, v0
	v_add_co_ci_u32_e32 v1, vcc_lo, v3, v1, vcc_lo
	s_delay_alu instid0(VALU_DEP_3) | instskip(SKIP_1) | instid1(VALU_DEP_4)
	v_lshlrev_b64 v[6:7], 2, v[4:5]
	v_mul_u32_u24_e32 v4, 0x3f6, v8
	v_add_co_u32 v2, vcc_lo, 0x1000, v0
	s_delay_alu instid0(VALU_DEP_4) | instskip(NEXT) | instid1(VALU_DEP_3)
	v_add_co_ci_u32_e32 v3, vcc_lo, 0, v1, vcc_lo
	v_lshlrev_b64 v[83:84], 2, v[4:5]
	v_add_co_u32 v6, vcc_lo, v0, v6
	v_add_co_ci_u32_e32 v7, vcc_lo, v1, v7, vcc_lo
	s_delay_alu instid0(VALU_DEP_2) | instskip(NEXT) | instid1(VALU_DEP_2)
	v_add_co_u32 v85, vcc_lo, 0x340, v6
	v_add_co_ci_u32_e32 v86, vcc_lo, 0, v7, vcc_lo
	v_add_co_u32 v83, vcc_lo, v0, v83
	v_add_co_ci_u32_e32 v84, vcc_lo, v1, v84, vcc_lo
	s_delay_alu instid0(VALU_DEP_2) | instskip(NEXT) | instid1(VALU_DEP_2)
	v_add_co_u32 v87, vcc_lo, 0x410, v83
	v_add_co_ci_u32_e32 v88, vcc_lo, 0, v84, vcc_lo
	s_waitcnt vmcnt(5)
	v_lshrrev_b32_e32 v4, 16, v65
	v_lshrrev_b32_e32 v8, 16, v66
	;; [unrolled: 1-line block ×3, first 2 shown]
	s_delay_alu instid0(VALU_DEP_3) | instskip(SKIP_1) | instid1(VALU_DEP_3)
	v_mul_f16_e32 v91, v59, v4
	s_waitcnt lgkmcnt(0)
	v_mul_f16_e32 v90, v64, v8
	s_delay_alu instid0(VALU_DEP_3)
	v_mul_f16_e32 v92, v60, v89
	v_mul_f16_e32 v8, v61, v8
	;; [unrolled: 1-line block ×4, first 2 shown]
	s_waitcnt vmcnt(4)
	v_lshrrev_b32_e32 v93, 16, v68
	v_lshrrev_b32_e32 v94, 16, v69
	;; [unrolled: 1-line block ×3, first 2 shown]
	v_fmac_f16_e32 v90, v61, v66
	v_fma_f16 v61, v62, v65, -v91
	v_fma_f16 v62, v63, v67, -v92
	;; [unrolled: 1-line block ×3, first 2 shown]
	v_fmac_f16_e32 v4, v59, v65
	v_fmac_f16_e32 v89, v60, v67
	v_mul_f16_e32 v59, v50, v94
	v_mul_f16_e32 v60, v55, v93
	;; [unrolled: 1-line block ×6, first 2 shown]
	s_waitcnt vmcnt(3)
	v_lshrrev_b32_e32 v67, 16, v71
	v_lshrrev_b32_e32 v91, 16, v72
	;; [unrolled: 1-line block ×3, first 2 shown]
	v_mul_f16_e32 v93, v53, v72
	v_fmac_f16_e32 v59, v56, v69
	v_fma_f16 v52, v52, v68, -v60
	v_fma_f16 v56, v58, v70, -v63
	;; [unrolled: 1-line block ×3, first 2 shown]
	v_fmac_f16_e32 v65, v55, v68
	v_fmac_f16_e32 v66, v57, v70
	v_mul_f16_e32 v55, v47, v67
	v_mul_f16_e32 v57, v51, v92
	;; [unrolled: 1-line block ×5, first 2 shown]
	s_waitcnt vmcnt(2)
	v_lshrrev_b32_e32 v63, 16, v74
	v_lshrrev_b32_e32 v64, 16, v75
	v_lshrrev_b32_e32 v67, 16, v76
	v_mul_f16_e32 v68, v42, v75
	v_sub_f16_e32 v90, v54, v90
	v_sub_f16_e32 v62, v61, v62
	;; [unrolled: 1-line block ×4, first 2 shown]
	v_fmac_f16_e32 v93, v45, v91
	v_sub_f16_e32 v56, v52, v56
	v_sub_f16_e32 v50, v43, v50
	v_fma_f16 v46, v46, v71, -v55
	v_fma_f16 v48, v48, v73, -v57
	v_fma_f16 v45, v45, v72, -v53
	v_fmac_f16_e32 v58, v47, v71
	v_fmac_f16_e32 v60, v51, v73
	;; [unrolled: 1-line block ×3, first 2 shown]
	v_mul_f16_e32 v47, v36, v63
	v_mul_f16_e32 v51, v40, v67
	;; [unrolled: 1-line block ×5, first 2 shown]
	s_waitcnt vmcnt(1)
	v_lshrrev_b32_e32 v57, 16, v77
	v_lshrrev_b32_e32 v63, 16, v78
	;; [unrolled: 1-line block ×3, first 2 shown]
	v_mul_f16_e32 v67, v38, v78
	s_waitcnt vmcnt(0)
	v_lshrrev_b32_e32 v71, 16, v80
	v_lshrrev_b32_e32 v72, 16, v81
	;; [unrolled: 1-line block ×3, first 2 shown]
	v_add_f16_e32 v69, v90, v62
	v_sub_f16_e32 v70, v8, v89
	v_fma_f16 v54, v54, 2.0, -v90
	v_fma_f16 v4, v4, 2.0, -v89
	;; [unrolled: 1-line block ×4, first 2 shown]
	v_sub_f16_e32 v59, v41, v59
	v_sub_f16_e32 v62, v65, v66
	v_mul_f16_e32 v89, v34, v81
	v_fma_f16 v43, v43, 2.0, -v50
	v_fma_f16 v52, v52, 2.0, -v56
	v_fma_f16 v39, v39, v74, -v47
	v_fma_f16 v44, v44, v76, -v51
	;; [unrolled: 1-line block ×3, first 2 shown]
	v_fmac_f16_e32 v53, v36, v74
	v_fmac_f16_e32 v55, v40, v76
	;; [unrolled: 1-line block ×3, first 2 shown]
	v_mul_f16_e32 v36, v30, v57
	v_mul_f16_e32 v40, v32, v64
	;; [unrolled: 1-line block ×10, first 2 shown]
	v_sub_f16_e32 v66, v37, v93
	v_fma_f16 v90, v90, 2.0, -v69
	v_fma_f16 v8, v8, 2.0, -v70
	v_sub_f16_e32 v4, v54, v4
	v_sub_f16_e32 v61, v49, v61
	v_pack_b32_f16 v69, v69, v70
	v_add_f16_e32 v70, v59, v56
	v_sub_f16_e32 v91, v50, v62
	v_fma_f16 v41, v41, 2.0, -v59
	v_fma_f16 v62, v65, 2.0, -v62
	v_sub_f16_e32 v48, v46, v48
	v_sub_f16_e32 v45, v28, v45
	;; [unrolled: 1-line block ×4, first 2 shown]
	v_fmac_f16_e32 v89, v25, v72
	v_sub_f16_e32 v52, v43, v52
	v_sub_f16_e32 v44, v39, v44
	v_fma_f16 v21, v21, v77, -v36
	v_fma_f16 v33, v33, v79, -v40
	;; [unrolled: 1-line block ×3, first 2 shown]
	v_fmac_f16_e32 v42, v30, v77
	v_fmac_f16_e32 v47, v32, v79
	v_fma_f16 v24, v24, v80, -v51
	v_fma_f16 v29, v29, v82, -v57
	;; [unrolled: 1-line block ×3, first 2 shown]
	v_fmac_f16_e32 v63, v26, v80
	v_fmac_f16_e32 v64, v31, v82
	v_fma_f16 v37, v37, 2.0, -v66
	v_fma_f16 v54, v54, 2.0, -v4
	;; [unrolled: 1-line block ×3, first 2 shown]
	v_pack_b32_f16 v4, v4, v61
	v_sub_f16_e32 v61, v41, v62
	v_add_f16_e32 v62, v66, v48
	v_sub_f16_e32 v65, v45, v56
	v_fma_f16 v56, v58, 2.0, -v56
	v_fma_f16 v28, v28, 2.0, -v45
	;; [unrolled: 1-line block ×3, first 2 shown]
	v_sub_f16_e32 v35, v19, v35
	v_sub_f16_e32 v48, v53, v55
	;; [unrolled: 1-line block ×4, first 2 shown]
	v_fma_f16 v34, v43, 2.0, -v52
	v_add_f16_e32 v43, v60, v44
	v_fma_f16 v39, v39, 2.0, -v44
	v_sub_f16_e32 v33, v21, v33
	v_sub_f16_e32 v20, v18, v20
	;; [unrolled: 1-line block ×6, first 2 shown]
	v_fma_f16 v59, v59, 2.0, -v70
	v_fma_f16 v50, v50, 2.0, -v91
	v_fma_f16 v27, v27, 2.0, -v60
	v_fma_f16 v32, v41, 2.0, -v61
	v_fma_f16 v36, v66, 2.0, -v62
	v_fma_f16 v38, v45, 2.0, -v65
	v_sub_f16_e32 v40, v37, v56
	v_sub_f16_e32 v41, v28, v46
	v_fma_f16 v46, v53, 2.0, -v48
	v_fma_f16 v19, v19, 2.0, -v35
	;; [unrolled: 1-line block ×4, first 2 shown]
	v_sub_f16_e32 v53, v20, v44
	v_fma_f16 v42, v42, 2.0, -v44
	v_fma_f16 v18, v18, 2.0, -v20
	;; [unrolled: 1-line block ×3, first 2 shown]
	v_sub_f16_e32 v44, v25, v47
	v_fma_f16 v47, v63, 2.0, -v47
	v_fma_f16 v17, v17, 2.0, -v25
	;; [unrolled: 1-line block ×3, first 2 shown]
	v_pack_b32_f16 v31, v54, v49
	v_sub_f16_e32 v45, v35, v48
	v_pack_b32_f16 v49, v59, v50
	v_pack_b32_f16 v50, v61, v52
	v_fma_f16 v37, v37, 2.0, -v40
	v_fma_f16 v28, v28, 2.0, -v41
	v_sub_f16_e32 v46, v27, v46
	v_sub_f16_e32 v39, v19, v39
	v_add_f16_e32 v52, v55, v33
	v_add_f16_e32 v33, v30, v29
	v_pack_b32_f16 v36, v36, v38
	v_pack_b32_f16 v38, v40, v41
	v_sub_f16_e32 v40, v23, v42
	v_sub_f16_e32 v21, v18, v21
	;; [unrolled: 1-line block ×4, first 2 shown]
	v_fma_f16 v51, v60, 2.0, -v43
	v_fma_f16 v35, v35, 2.0, -v45
	v_pack_b32_f16 v32, v32, v34
	v_fma_f16 v27, v27, 2.0, -v46
	v_fma_f16 v19, v19, 2.0, -v39
	;; [unrolled: 1-line block ×10, first 2 shown]
	v_pack_b32_f16 v24, v41, v24
	v_pack_b32_f16 v21, v40, v21
	;; [unrolled: 1-line block ×16, first 2 shown]
	s_clause 0x17
	global_store_b32 v[0:1], v24, off offset:2704
	global_store_b32 v[0:1], v21, off offset:2912
	;; [unrolled: 1-line block ×8, first 2 shown]
	global_store_b32 v[0:1], v17, off
	global_store_b32 v[0:1], v18, off offset:208
	global_store_b32 v[0:1], v19, off offset:416
	;; [unrolled: 1-line block ×15, first 2 shown]
	s_and_b32 exec_lo, exec_lo, s0
	s_cbranch_execz .LBB0_18
; %bb.17:
	v_mul_i32_i24_e32 v4, 3, v9
	v_lshrrev_b32_e32 v8, 16, v10
	s_delay_alu instid0(VALU_DEP_2) | instskip(NEXT) | instid1(VALU_DEP_1)
	v_lshlrev_b64 v[4:5], 2, v[4:5]
	v_add_co_u32 v4, vcc_lo, s4, v4
	s_delay_alu instid0(VALU_DEP_2)
	v_add_co_ci_u32_e32 v5, vcc_lo, s5, v5, vcc_lo
	global_load_b96 v[4:6], v[4:5], off offset:1344
	s_waitcnt vmcnt(0)
	v_lshrrev_b32_e32 v7, 16, v4
	v_lshrrev_b32_e32 v9, 16, v5
	v_lshrrev_b32_e32 v17, 16, v6
	s_delay_alu instid0(VALU_DEP_3) | instskip(SKIP_1) | instid1(VALU_DEP_4)
	v_mul_f16_e32 v18, v12, v7
	v_mul_f16_e32 v7, v8, v7
	;; [unrolled: 1-line block ×6, first 2 shown]
	v_fmac_f16_e32 v18, v8, v4
	v_fma_f16 v4, v12, v4, -v7
	v_fmac_f16_e32 v19, v13, v5
	v_fma_f16 v5, v15, v5, -v9
	v_fmac_f16_e32 v20, v14, v6
	v_fma_f16 v6, v16, v6, -v17
	s_delay_alu instid0(VALU_DEP_4) | instskip(NEXT) | instid1(VALU_DEP_4)
	v_sub_f16_e32 v7, v10, v19
	v_sub_f16_e32 v5, v11, v5
	s_delay_alu instid0(VALU_DEP_4) | instskip(NEXT) | instid1(VALU_DEP_4)
	v_sub_f16_e32 v8, v18, v20
	v_sub_f16_e32 v6, v4, v6
	s_delay_alu instid0(VALU_DEP_4) | instskip(NEXT) | instid1(VALU_DEP_4)
	v_fma_f16 v9, v10, 2.0, -v7
	v_fma_f16 v10, v11, 2.0, -v5
	s_delay_alu instid0(VALU_DEP_4) | instskip(NEXT) | instid1(VALU_DEP_4)
	v_fma_f16 v11, v18, 2.0, -v8
	v_fma_f16 v4, v4, 2.0, -v6
	v_add_f16_e32 v6, v7, v6
	v_sub_f16_e32 v8, v5, v8
	s_delay_alu instid0(VALU_DEP_4) | instskip(NEXT) | instid1(VALU_DEP_4)
	v_sub_f16_e32 v11, v9, v11
	v_sub_f16_e32 v4, v10, v4
	s_delay_alu instid0(VALU_DEP_4) | instskip(NEXT) | instid1(VALU_DEP_4)
	v_fma_f16 v7, v7, 2.0, -v6
	v_fma_f16 v5, v5, 2.0, -v8
	v_pack_b32_f16 v6, v6, v8
	v_fma_f16 v9, v9, 2.0, -v11
	v_fma_f16 v10, v10, 2.0, -v4
	v_pack_b32_f16 v4, v11, v4
	v_pack_b32_f16 v5, v7, v5
	s_delay_alu instid0(VALU_DEP_3)
	v_pack_b32_f16 v9, v9, v10
	s_clause 0x3
	global_store_b32 v[0:1], v9, off offset:1248
	global_store_b32 v[0:1], v5, off offset:2600
	;; [unrolled: 1-line block ×4, first 2 shown]
.LBB0_18:
	s_nop 0
	s_sendmsg sendmsg(MSG_DEALLOC_VGPRS)
	s_endpgm
	.section	.rodata,"a",@progbits
	.p2align	6, 0x0
	.amdhsa_kernel fft_rtc_back_len1352_factors_2_13_13_4_wgs_52_tpt_52_halfLds_half_ip_CI_unitstride_sbrr_dirReg
		.amdhsa_group_segment_fixed_size 0
		.amdhsa_private_segment_fixed_size 0
		.amdhsa_kernarg_size 88
		.amdhsa_user_sgpr_count 15
		.amdhsa_user_sgpr_dispatch_ptr 0
		.amdhsa_user_sgpr_queue_ptr 0
		.amdhsa_user_sgpr_kernarg_segment_ptr 1
		.amdhsa_user_sgpr_dispatch_id 0
		.amdhsa_user_sgpr_private_segment_size 0
		.amdhsa_wavefront_size32 1
		.amdhsa_uses_dynamic_stack 0
		.amdhsa_enable_private_segment 0
		.amdhsa_system_sgpr_workgroup_id_x 1
		.amdhsa_system_sgpr_workgroup_id_y 0
		.amdhsa_system_sgpr_workgroup_id_z 0
		.amdhsa_system_sgpr_workgroup_info 0
		.amdhsa_system_vgpr_workitem_id 0
		.amdhsa_next_free_vgpr 120
		.amdhsa_next_free_sgpr 21
		.amdhsa_reserve_vcc 1
		.amdhsa_float_round_mode_32 0
		.amdhsa_float_round_mode_16_64 0
		.amdhsa_float_denorm_mode_32 3
		.amdhsa_float_denorm_mode_16_64 3
		.amdhsa_dx10_clamp 1
		.amdhsa_ieee_mode 1
		.amdhsa_fp16_overflow 0
		.amdhsa_workgroup_processor_mode 1
		.amdhsa_memory_ordered 1
		.amdhsa_forward_progress 0
		.amdhsa_shared_vgpr_count 0
		.amdhsa_exception_fp_ieee_invalid_op 0
		.amdhsa_exception_fp_denorm_src 0
		.amdhsa_exception_fp_ieee_div_zero 0
		.amdhsa_exception_fp_ieee_overflow 0
		.amdhsa_exception_fp_ieee_underflow 0
		.amdhsa_exception_fp_ieee_inexact 0
		.amdhsa_exception_int_div_zero 0
	.end_amdhsa_kernel
	.text
.Lfunc_end0:
	.size	fft_rtc_back_len1352_factors_2_13_13_4_wgs_52_tpt_52_halfLds_half_ip_CI_unitstride_sbrr_dirReg, .Lfunc_end0-fft_rtc_back_len1352_factors_2_13_13_4_wgs_52_tpt_52_halfLds_half_ip_CI_unitstride_sbrr_dirReg
                                        ; -- End function
	.section	.AMDGPU.csdata,"",@progbits
; Kernel info:
; codeLenInByte = 19004
; NumSgprs: 23
; NumVgprs: 120
; ScratchSize: 0
; MemoryBound: 0
; FloatMode: 240
; IeeeMode: 1
; LDSByteSize: 0 bytes/workgroup (compile time only)
; SGPRBlocks: 2
; VGPRBlocks: 14
; NumSGPRsForWavesPerEU: 23
; NumVGPRsForWavesPerEU: 120
; Occupancy: 12
; WaveLimiterHint : 1
; COMPUTE_PGM_RSRC2:SCRATCH_EN: 0
; COMPUTE_PGM_RSRC2:USER_SGPR: 15
; COMPUTE_PGM_RSRC2:TRAP_HANDLER: 0
; COMPUTE_PGM_RSRC2:TGID_X_EN: 1
; COMPUTE_PGM_RSRC2:TGID_Y_EN: 0
; COMPUTE_PGM_RSRC2:TGID_Z_EN: 0
; COMPUTE_PGM_RSRC2:TIDIG_COMP_CNT: 0
	.text
	.p2alignl 7, 3214868480
	.fill 96, 4, 3214868480
	.type	__hip_cuid_5da71ec2485bbd19,@object ; @__hip_cuid_5da71ec2485bbd19
	.section	.bss,"aw",@nobits
	.globl	__hip_cuid_5da71ec2485bbd19
__hip_cuid_5da71ec2485bbd19:
	.byte	0                               ; 0x0
	.size	__hip_cuid_5da71ec2485bbd19, 1

	.ident	"AMD clang version 19.0.0git (https://github.com/RadeonOpenCompute/llvm-project roc-6.4.0 25133 c7fe45cf4b819c5991fe208aaa96edf142730f1d)"
	.section	".note.GNU-stack","",@progbits
	.addrsig
	.addrsig_sym __hip_cuid_5da71ec2485bbd19
	.amdgpu_metadata
---
amdhsa.kernels:
  - .args:
      - .actual_access:  read_only
        .address_space:  global
        .offset:         0
        .size:           8
        .value_kind:     global_buffer
      - .offset:         8
        .size:           8
        .value_kind:     by_value
      - .actual_access:  read_only
        .address_space:  global
        .offset:         16
        .size:           8
        .value_kind:     global_buffer
      - .actual_access:  read_only
        .address_space:  global
        .offset:         24
        .size:           8
        .value_kind:     global_buffer
      - .offset:         32
        .size:           8
        .value_kind:     by_value
      - .actual_access:  read_only
        .address_space:  global
        .offset:         40
        .size:           8
        .value_kind:     global_buffer
      - .actual_access:  read_only
        .address_space:  global
        .offset:         48
        .size:           8
        .value_kind:     global_buffer
      - .offset:         56
        .size:           4
        .value_kind:     by_value
      - .actual_access:  read_only
        .address_space:  global
        .offset:         64
        .size:           8
        .value_kind:     global_buffer
      - .actual_access:  read_only
        .address_space:  global
        .offset:         72
        .size:           8
        .value_kind:     global_buffer
      - .address_space:  global
        .offset:         80
        .size:           8
        .value_kind:     global_buffer
    .group_segment_fixed_size: 0
    .kernarg_segment_align: 8
    .kernarg_segment_size: 88
    .language:       OpenCL C
    .language_version:
      - 2
      - 0
    .max_flat_workgroup_size: 52
    .name:           fft_rtc_back_len1352_factors_2_13_13_4_wgs_52_tpt_52_halfLds_half_ip_CI_unitstride_sbrr_dirReg
    .private_segment_fixed_size: 0
    .sgpr_count:     23
    .sgpr_spill_count: 0
    .symbol:         fft_rtc_back_len1352_factors_2_13_13_4_wgs_52_tpt_52_halfLds_half_ip_CI_unitstride_sbrr_dirReg.kd
    .uniform_work_group_size: 1
    .uses_dynamic_stack: false
    .vgpr_count:     120
    .vgpr_spill_count: 0
    .wavefront_size: 32
    .workgroup_processor_mode: 1
amdhsa.target:   amdgcn-amd-amdhsa--gfx1100
amdhsa.version:
  - 1
  - 2
...

	.end_amdgpu_metadata
